;; amdgpu-corpus repo=ROCm/rocFFT kind=compiled arch=gfx906 opt=O3
	.text
	.amdgcn_target "amdgcn-amd-amdhsa--gfx906"
	.amdhsa_code_object_version 6
	.protected	bluestein_single_fwd_len810_dim1_dp_op_CI_CI ; -- Begin function bluestein_single_fwd_len810_dim1_dp_op_CI_CI
	.globl	bluestein_single_fwd_len810_dim1_dp_op_CI_CI
	.p2align	8
	.type	bluestein_single_fwd_len810_dim1_dp_op_CI_CI,@function
bluestein_single_fwd_len810_dim1_dp_op_CI_CI: ; @bluestein_single_fwd_len810_dim1_dp_op_CI_CI
; %bb.0:
	s_load_dwordx4 s[12:15], s[4:5], 0x28
	v_mul_u32_u24_e32 v1, 0x32a, v0
	v_add_u32_sdwa v218, s6, v1 dst_sel:DWORD dst_unused:UNUSED_PAD src0_sel:DWORD src1_sel:WORD_1
	v_mov_b32_e32 v219, 0
	s_waitcnt lgkmcnt(0)
	v_cmp_gt_u64_e32 vcc, s[12:13], v[218:219]
	s_and_saveexec_b64 s[0:1], vcc
	s_cbranch_execz .LBB0_39
; %bb.1:
	s_load_dwordx4 s[0:3], s[4:5], 0x18
	s_load_dwordx2 s[12:13], s[4:5], 0x0
	s_load_dwordx2 s[6:7], s[4:5], 0x38
	s_waitcnt lgkmcnt(0)
	s_load_dwordx4 s[8:11], s[0:1], 0x0
	s_movk_i32 s0, 0x51
	v_mul_lo_u16_sdwa v1, v1, s0 dst_sel:DWORD dst_unused:UNUSED_PAD src0_sel:WORD_1 src1_sel:DWORD
	v_sub_u16_e32 v220, v0, v1
	v_lshlrev_b32_e32 v219, 4, v220
	s_waitcnt lgkmcnt(0)
	v_mad_u64_u32 v[0:1], s[0:1], s10, v218, 0
	v_mad_u64_u32 v[2:3], s[0:1], s8, v220, 0
	;; [unrolled: 1-line block ×4, first 2 shown]
	v_mov_b32_e32 v1, v4
	v_lshlrev_b64 v[0:1], 4, v[0:1]
	v_mov_b32_e32 v6, s15
	v_mov_b32_e32 v3, v5
	v_add_co_u32_e32 v4, vcc, s14, v0
	v_addc_co_u32_e32 v5, vcc, v6, v1, vcc
	v_lshlrev_b64 v[0:1], 4, v[2:3]
	v_mov_b32_e32 v2, s13
	v_add_co_u32_e32 v0, vcc, v4, v0
	v_addc_co_u32_e32 v1, vcc, v5, v1, vcc
	v_add_co_u32_e32 v216, vcc, s12, v219
	v_addc_co_u32_e64 v217, s[0:1], 0, v2, vcc
	s_mul_i32 s0, s9, 0x10e
	s_mul_hi_u32 s1, s8, 0x10e
	s_add_i32 s1, s1, s0
	s_mul_i32 s0, s8, 0x10e
	s_lshl_b64 s[14:15], s[0:1], 4
	v_mov_b32_e32 v39, s15
	v_add_co_u32_e64 v2, s[0:1], s14, v0
	v_addc_co_u32_e64 v3, s[0:1], v1, v39, s[0:1]
	s_movk_i32 s0, 0x1000
	v_add_co_u32_e64 v32, s[0:1], s0, v216
	v_addc_co_u32_e64 v33, s[0:1], 0, v217, s[0:1]
	v_add_co_u32_e64 v8, s[0:1], s14, v2
	v_addc_co_u32_e64 v9, s[0:1], v3, v39, s[0:1]
	s_movk_i32 s0, 0x2000
	v_add_co_u32_e64 v36, s[0:1], s0, v216
	global_load_dwordx4 v[4:7], v219, s[12:13]
	v_addc_co_u32_e64 v37, s[0:1], 0, v217, s[0:1]
	global_load_dwordx4 v[40:43], v[0:1], off
	global_load_dwordx4 v[44:47], v[2:3], off
	s_mul_hi_u32 s1, s8, 0xfffffe35
	s_mul_i32 s0, s9, 0xfffffe35
	s_sub_i32 s1, s1, s8
	s_add_i32 s1, s1, s0
	s_mul_i32 s0, s8, 0xfffffe35
	s_lshl_b64 s[16:17], s[0:1], 4
	v_mov_b32_e32 v22, s17
	v_add_co_u32_e64 v16, s[0:1], s16, v8
	v_addc_co_u32_e64 v17, s[0:1], v9, v22, s[0:1]
	v_add_co_u32_e64 v18, s[0:1], s14, v16
	global_load_dwordx4 v[48:51], v[8:9], off
	global_load_dwordx4 v[0:3], v[36:37], off offset:448
	global_load_dwordx4 v[12:15], v219, s[12:13] offset:1296
	v_addc_co_u32_e64 v19, s[0:1], v17, v39, s[0:1]
	global_load_dwordx4 v[52:55], v[16:17], off
	global_load_dwordx4 v[56:59], v[18:19], off
	global_load_dwordx4 v[28:31], v[32:33], off offset:224
	global_load_dwordx4 v[8:11], v[32:33], off offset:1520
	v_add_co_u32_e64 v20, s[0:1], s14, v18
	v_addc_co_u32_e64 v21, s[0:1], v19, v39, s[0:1]
	v_add_co_u32_e64 v24, s[0:1], s16, v20
	v_addc_co_u32_e64 v25, s[0:1], v21, v22, s[0:1]
	v_add_co_u32_e64 v34, s[0:1], s14, v24
	global_load_dwordx4 v[60:63], v[20:21], off
	global_load_dwordx4 v[16:19], v[36:37], off offset:1744
	v_addc_co_u32_e64 v35, s[0:1], v25, v39, s[0:1]
	global_load_dwordx4 v[64:67], v[24:25], off
	global_load_dwordx4 v[20:23], v219, s[12:13] offset:2592
	v_add_co_u32_e64 v38, s[0:1], s14, v34
	global_load_dwordx4 v[68:71], v[34:35], off
	global_load_dwordx4 v[24:27], v[32:33], off offset:2816
	v_addc_co_u32_e64 v39, s[0:1], v35, v39, s[0:1]
	global_load_dwordx4 v[72:75], v[38:39], off
	global_load_dwordx4 v[32:35], v[36:37], off offset:3040
	s_load_dwordx4 s[8:11], s[2:3], 0x0
	v_cmp_gt_u16_e64 s[0:1], 27, v220
	s_waitcnt vmcnt(16)
	v_mul_f64 v[76:77], v[42:43], v[6:7]
	v_mul_f64 v[78:79], v[40:41], v[6:7]
	v_fma_f64 v[40:41], v[40:41], v[4:5], v[76:77]
	v_fma_f64 v[42:43], v[42:43], v[4:5], -v[78:79]
	s_waitcnt vmcnt(13)
	v_mul_f64 v[80:81], v[50:51], v[2:3]
	v_mul_f64 v[82:83], v[48:49], v[2:3]
	s_waitcnt vmcnt(11)
	v_mul_f64 v[84:85], v[54:55], v[14:15]
	s_waitcnt vmcnt(9)
	v_mul_f64 v[76:77], v[46:47], v[30:31]
	v_mul_f64 v[78:79], v[44:45], v[30:31]
	;; [unrolled: 1-line block ×3, first 2 shown]
	s_waitcnt vmcnt(8)
	v_mul_f64 v[88:89], v[58:59], v[10:11]
	v_mul_f64 v[90:91], v[56:57], v[10:11]
	ds_write_b128 v219, v[40:43]
	v_fma_f64 v[40:41], v[44:45], v[28:29], v[76:77]
	v_fma_f64 v[42:43], v[46:47], v[28:29], -v[78:79]
	v_fma_f64 v[44:45], v[48:49], v[0:1], v[80:81]
	v_fma_f64 v[46:47], v[50:51], v[0:1], -v[82:83]
	;; [unrolled: 2-line block ×4, first 2 shown]
	s_waitcnt vmcnt(6)
	v_mul_f64 v[56:57], v[62:63], v[18:19]
	v_mul_f64 v[58:59], v[60:61], v[18:19]
	s_waitcnt vmcnt(4)
	v_mul_f64 v[76:77], v[66:67], v[22:23]
	v_mul_f64 v[78:79], v[64:65], v[22:23]
	;; [unrolled: 3-line block ×4, first 2 shown]
	v_fma_f64 v[56:57], v[60:61], v[16:17], v[56:57]
	v_fma_f64 v[58:59], v[62:63], v[16:17], -v[58:59]
	v_fma_f64 v[60:61], v[64:65], v[20:21], v[76:77]
	v_fma_f64 v[62:63], v[66:67], v[20:21], -v[78:79]
	;; [unrolled: 2-line block ×4, first 2 shown]
	ds_write_b128 v219, v[40:43] offset:4320
	ds_write_b128 v219, v[44:47] offset:8640
	;; [unrolled: 1-line block ×8, first 2 shown]
	s_and_saveexec_b64 s[18:19], s[0:1]
	s_cbranch_execz .LBB0_3
; %bb.2:
	v_mov_b32_e32 v40, s17
	v_add_co_u32_e64 v42, s[2:3], s16, v38
	v_addc_co_u32_e64 v43, s[2:3], v39, v40, s[2:3]
	v_mov_b32_e32 v56, s15
	v_add_co_u32_e64 v54, s[2:3], s14, v42
	v_addc_co_u32_e64 v55, s[2:3], v43, v56, s[2:3]
	global_load_dwordx4 v[38:41], v[42:43], off
	s_nop 0
	global_load_dwordx4 v[42:45], v[54:55], off
	global_load_dwordx4 v[46:49], v[216:217], off offset:3888
	global_load_dwordx4 v[50:53], v[36:37], off offset:16
	v_add_co_u32_e64 v36, s[2:3], s14, v54
	v_addc_co_u32_e64 v37, s[2:3], v55, v56, s[2:3]
	s_movk_i32 s2, 0x3000
	v_add_co_u32_e64 v62, s[2:3], s2, v216
	v_addc_co_u32_e64 v63, s[2:3], 0, v217, s[2:3]
	global_load_dwordx4 v[54:57], v[62:63], off offset:240
	global_load_dwordx4 v[58:61], v[36:37], off
	s_waitcnt vmcnt(3)
	v_mul_f64 v[36:37], v[40:41], v[48:49]
	v_mul_f64 v[48:49], v[38:39], v[48:49]
	s_waitcnt vmcnt(2)
	v_mul_f64 v[62:63], v[44:45], v[52:53]
	v_mul_f64 v[52:53], v[42:43], v[52:53]
	v_fma_f64 v[36:37], v[38:39], v[46:47], v[36:37]
	v_fma_f64 v[38:39], v[40:41], v[46:47], -v[48:49]
	v_fma_f64 v[40:41], v[42:43], v[50:51], v[62:63]
	s_waitcnt vmcnt(0)
	v_mul_f64 v[64:65], v[60:61], v[56:57]
	v_mul_f64 v[56:57], v[58:59], v[56:57]
	v_fma_f64 v[42:43], v[44:45], v[50:51], -v[52:53]
	v_fma_f64 v[44:45], v[58:59], v[54:55], v[64:65]
	v_fma_f64 v[46:47], v[60:61], v[54:55], -v[56:57]
	ds_write_b128 v219, v[36:39] offset:3888
	ds_write_b128 v219, v[40:43] offset:8208
	;; [unrolled: 1-line block ×3, first 2 shown]
.LBB0_3:
	s_or_b64 exec, exec, s[18:19]
	s_waitcnt lgkmcnt(0)
	s_barrier
	ds_read_b128 v[76:79], v219
	ds_read_b128 v[64:67], v219 offset:1296
	ds_read_b128 v[68:71], v219 offset:8640
	;; [unrolled: 1-line block ×8, first 2 shown]
	s_load_dwordx2 s[4:5], s[4:5], 0x8
                                        ; implicit-def: $vgpr36_vgpr37
                                        ; implicit-def: $vgpr40_vgpr41
                                        ; implicit-def: $vgpr44_vgpr45
	s_and_saveexec_b64 s[2:3], s[0:1]
	s_cbranch_execz .LBB0_5
; %bb.4:
	ds_read_b128 v[36:39], v219 offset:3888
	ds_read_b128 v[40:43], v219 offset:8208
	;; [unrolled: 1-line block ×3, first 2 shown]
.LBB0_5:
	s_or_b64 exec, exec, s[2:3]
	s_waitcnt lgkmcnt(0)
	v_add_f64 v[84:85], v[80:81], v[68:69]
	v_add_f64 v[86:87], v[76:77], v[80:81]
	s_movk_i32 s2, 0x51
	v_add_co_u32_e64 v195, s[2:3], s2, v220
	v_addc_co_u32_e64 v184, s[2:3], 0, 0, s[2:3]
	v_add_f64 v[90:91], v[82:83], -v[70:71]
	v_fma_f64 v[88:89], v[84:85], -0.5, v[76:77]
	v_add_f64 v[92:93], v[82:83], v[70:71]
	v_add_f64 v[76:77], v[86:87], v[68:69]
	;; [unrolled: 1-line block ×5, first 2 shown]
	s_movk_i32 s2, 0xa2
	v_add_co_u32_e64 v194, s[2:3], s2, v220
	s_movk_i32 s2, 0xf3
	v_add_co_u32_e64 v192, s[2:3], s2, v220
	v_addc_co_u32_e64 v193, s[2:3], 0, 0, s[2:3]
	s_mov_b32 s2, 0xe8584caa
	s_mov_b32 s3, 0x3febb67a
	;; [unrolled: 1-line block ×4, first 2 shown]
	v_fma_f64 v[84:85], v[90:91], s[2:3], v[88:89]
	v_fma_f64 v[92:93], v[92:93], -0.5, v[78:79]
	v_add_f64 v[80:81], v[80:81], -v[68:69]
	v_fma_f64 v[68:69], v[90:91], s[14:15], v[88:89]
	v_add_f64 v[88:89], v[64:65], v[72:73]
	v_fma_f64 v[90:91], v[86:87], -0.5, v[64:65]
	v_add_f64 v[96:97], v[74:75], -v[62:63]
	v_add_f64 v[78:79], v[82:83], v[70:71]
	v_add_f64 v[74:75], v[66:67], v[74:75]
	v_fma_f64 v[82:83], v[94:95], -0.5, v[66:67]
	v_add_f64 v[94:95], v[72:73], -v[60:61]
	v_fma_f64 v[86:87], v[80:81], s[14:15], v[92:93]
	v_fma_f64 v[70:71], v[80:81], s[2:3], v[92:93]
	v_add_f64 v[60:61], v[88:89], v[60:61]
	v_fma_f64 v[64:65], v[96:97], s[2:3], v[90:91]
	v_fma_f64 v[72:73], v[96:97], s[14:15], v[90:91]
	v_add_f64 v[88:89], v[56:57], v[48:49]
	v_add_f64 v[62:63], v[74:75], v[62:63]
	v_fma_f64 v[66:67], v[94:95], s[14:15], v[82:83]
	v_add_f64 v[90:91], v[58:59], v[50:51]
	v_fma_f64 v[74:75], v[94:95], s[2:3], v[82:83]
	v_add_f64 v[82:83], v[40:41], v[44:45]
	v_add_f64 v[92:93], v[42:43], v[46:47]
	v_add_f64 v[80:81], v[52:53], v[56:57]
	v_fma_f64 v[52:53], v[88:89], -0.5, v[52:53]
	v_add_f64 v[88:89], v[58:59], -v[50:51]
	v_add_f64 v[58:59], v[54:55], v[58:59]
	v_fma_f64 v[54:55], v[90:91], -0.5, v[54:55]
	v_add_f64 v[94:95], v[42:43], -v[46:47]
	v_fma_f64 v[90:91], v[82:83], -0.5, v[36:37]
	v_fma_f64 v[92:93], v[92:93], -0.5, v[38:39]
	v_add_f64 v[96:97], v[40:41], -v[44:45]
	v_add_f64 v[56:57], v[56:57], -v[48:49]
	v_add_f64 v[80:81], v[80:81], v[48:49]
	v_add_f64 v[82:83], v[58:59], v[50:51]
	v_fma_f64 v[48:49], v[88:89], s[2:3], v[52:53]
	v_fma_f64 v[52:53], v[88:89], s[14:15], v[52:53]
	;; [unrolled: 1-line block ×8, first 2 shown]
	v_mul_lo_u16_e32 v56, 3, v220
	v_lshlrev_b32_e32 v221, 4, v56
	v_mul_u32_u24_e32 v56, 3, v195
	v_lshlrev_b32_e32 v222, 4, v56
	v_mul_u32_u24_e32 v56, 3, v194
	;; [unrolled: 2-line block ×3, first 2 shown]
	s_barrier
	ds_write_b128 v221, v[76:79]
	ds_write_b128 v221, v[84:87] offset:16
	ds_write_b128 v221, v[68:71] offset:32
	ds_write_b128 v222, v[60:63]
	ds_write_b128 v222, v[64:67] offset:16
	ds_write_b128 v222, v[72:75] offset:32
	;; [unrolled: 3-line block ×3, first 2 shown]
	s_and_saveexec_b64 s[2:3], s[0:1]
	s_cbranch_execz .LBB0_7
; %bb.6:
	v_add_f64 v[38:39], v[38:39], v[42:43]
	v_add_f64 v[36:37], v[36:37], v[40:41]
	v_lshlrev_b32_e32 v40, 4, v224
	v_add_f64 v[38:39], v[38:39], v[46:47]
	v_add_f64 v[36:37], v[36:37], v[44:45]
	ds_write_b128 v40, v[104:107] offset:16
	ds_write_b128 v40, v[36:39]
	ds_write_b128 v40, v[108:111] offset:32
.LBB0_7:
	s_or_b64 exec, exec, s[2:3]
	s_movk_i32 s2, 0xab
	v_mul_lo_u16_sdwa v36, v220, s2 dst_sel:DWORD dst_unused:UNUSED_PAD src0_sel:BYTE_0 src1_sel:DWORD
	v_lshrrev_b16_e32 v72, 9, v36
	v_mul_lo_u16_e32 v36, 3, v72
	v_sub_u16_e32 v36, v220, v36
	v_and_b32_e32 v103, 0xff, v36
	v_mov_b32_e32 v37, s5
	s_movk_i32 s2, 0x90
	v_mov_b32_e32 v36, s4
	v_mad_u64_u32 v[73:74], s[2:3], v103, s2, v[36:37]
	s_waitcnt lgkmcnt(0)
	s_barrier
	global_load_dwordx4 v[52:55], v[73:74], off
	global_load_dwordx4 v[44:47], v[73:74], off offset:16
	global_load_dwordx4 v[40:43], v[73:74], off offset:32
	;; [unrolled: 1-line block ×8, first 2 shown]
	ds_read_b128 v[73:76], v219
	ds_read_b128 v[77:80], v219 offset:1296
	ds_read_b128 v[81:84], v219 offset:2592
	;; [unrolled: 1-line block ×9, first 2 shown]
	s_mov_b32 s2, 0x134454ff
	s_mov_b32 s3, 0x3fee6f0e
	;; [unrolled: 1-line block ×12, first 2 shown]
	v_mul_u32_u24_e32 v72, 30, v72
	v_add_lshl_u32 v225, v72, v103, 4
	s_waitcnt vmcnt(0) lgkmcnt(0)
	s_barrier
	v_mul_f64 v[101:102], v[79:80], v[54:55]
	v_mul_f64 v[126:127], v[83:84], v[46:47]
	;; [unrolled: 1-line block ×15, first 2 shown]
	v_fma_f64 v[81:82], v[81:82], v[44:45], -v[126:127]
	v_fma_f64 v[83:84], v[83:84], v[44:45], v[128:129]
	v_fma_f64 v[89:90], v[89:90], v[36:37], -v[134:135]
	v_fma_f64 v[91:92], v[91:92], v[36:37], v[136:137]
	v_fma_f64 v[97:98], v[97:98], v[56:57], -v[142:143]
	v_fma_f64 v[99:100], v[99:100], v[56:57], v[144:145]
	v_fma_f64 v[116:117], v[116:117], v[60:61], -v[150:151]
	v_mul_f64 v[130:131], v[87:88], v[42:43]
	v_mul_f64 v[132:133], v[85:86], v[42:43]
	;; [unrolled: 1-line block ×3, first 2 shown]
	v_fma_f64 v[77:78], v[77:78], v[52:53], -v[101:102]
	v_fma_f64 v[79:80], v[79:80], v[52:53], v[124:125]
	v_fma_f64 v[93:94], v[93:94], v[64:65], -v[138:139]
	v_fma_f64 v[95:96], v[95:96], v[64:65], v[140:141]
	v_fma_f64 v[101:102], v[118:119], v[60:61], v[152:153]
	v_fma_f64 v[112:113], v[112:113], v[48:49], -v[146:147]
	v_fma_f64 v[118:119], v[120:121], v[68:69], -v[154:155]
	v_fma_f64 v[120:121], v[122:123], v[68:69], v[156:157]
	v_add_f64 v[122:123], v[73:74], v[81:82]
	v_add_f64 v[124:125], v[89:90], v[97:98]
	;; [unrolled: 1-line block ×5, first 2 shown]
	v_fma_f64 v[85:86], v[85:86], v[40:41], -v[130:131]
	v_fma_f64 v[87:88], v[87:88], v[40:41], v[132:133]
	v_add_f64 v[126:127], v[83:84], -v[101:102]
	v_add_f64 v[128:129], v[91:92], -v[99:100]
	v_add_f64 v[130:131], v[81:82], -v[89:90]
	v_add_f64 v[132:133], v[116:117], -v[97:98]
	v_add_f64 v[136:137], v[89:90], -v[81:82]
	v_add_f64 v[138:139], v[97:98], -v[116:117]
	v_add_f64 v[81:82], v[81:82], -v[116:117]
	v_add_f64 v[144:145], v[89:90], -v[97:98]
	v_add_f64 v[146:147], v[83:84], -v[91:92]
	v_add_f64 v[150:151], v[83:84], v[101:102]
	v_add_f64 v[83:84], v[91:92], -v[83:84]
	v_add_f64 v[156:157], v[93:94], v[112:113]
	v_add_f64 v[89:90], v[122:123], v[89:90]
	;; [unrolled: 1-line block ×3, first 2 shown]
	v_fma_f64 v[124:125], v[124:125], -0.5, v[73:74]
	v_fma_f64 v[73:74], v[134:135], -0.5, v[73:74]
	;; [unrolled: 1-line block ×3, first 2 shown]
	v_fma_f64 v[114:115], v[114:115], v[48:49], v[148:149]
	v_add_f64 v[148:149], v[101:102], -v[99:100]
	v_add_f64 v[152:153], v[99:100], -v[101:102]
	v_add_f64 v[154:155], v[77:78], v[85:86]
	v_add_f64 v[158:159], v[87:88], -v[120:121]
	v_add_f64 v[122:123], v[130:131], v[132:133]
	v_add_f64 v[130:131], v[136:137], v[138:139]
	v_fma_f64 v[75:76], v[150:151], -0.5, v[75:76]
	v_fma_f64 v[138:139], v[156:157], -0.5, v[77:78]
	v_add_f64 v[89:90], v[89:90], v[97:98]
	v_fma_f64 v[97:98], v[126:127], s[2:3], v[124:125]
	v_fma_f64 v[124:125], v[126:127], s[18:19], v[124:125]
	;; [unrolled: 1-line block ×4, first 2 shown]
	v_add_f64 v[91:92], v[91:92], v[99:100]
	v_fma_f64 v[99:100], v[81:82], s[18:19], v[134:135]
	v_fma_f64 v[134:135], v[81:82], s[2:3], v[134:135]
	v_add_f64 v[160:161], v[95:96], -v[114:115]
	v_add_f64 v[162:163], v[85:86], -v[93:94]
	v_add_f64 v[164:165], v[118:119], -v[112:113]
	v_add_f64 v[166:167], v[85:86], v[118:119]
	v_add_f64 v[132:133], v[146:147], v[148:149]
	;; [unrolled: 1-line block ×3, first 2 shown]
	v_fma_f64 v[142:143], v[144:145], s[2:3], v[75:76]
	v_fma_f64 v[75:76], v[144:145], s[18:19], v[75:76]
	;; [unrolled: 1-line block ×3, first 2 shown]
	v_add_f64 v[116:117], v[89:90], v[116:117]
	v_fma_f64 v[89:90], v[128:129], s[14:15], v[97:98]
	v_fma_f64 v[97:98], v[128:129], s[20:21], v[124:125]
	;; [unrolled: 1-line block ×5, first 2 shown]
	v_add_f64 v[101:102], v[91:92], v[101:102]
	v_fma_f64 v[91:92], v[144:145], s[14:15], v[134:135]
	v_fma_f64 v[126:127], v[81:82], s[20:21], v[142:143]
	;; [unrolled: 1-line block ×3, first 2 shown]
	v_fma_f64 v[77:78], v[166:167], -0.5, v[77:78]
	v_fma_f64 v[124:125], v[130:131], s[16:17], v[124:125]
	v_fma_f64 v[130:131], v[130:131], s[16:17], v[73:74]
	;; [unrolled: 1-line block ×3, first 2 shown]
	v_add_f64 v[73:74], v[83:84], v[152:153]
	v_fma_f64 v[132:133], v[132:133], s[16:17], v[91:92]
	v_fma_f64 v[75:76], v[81:82], s[14:15], v[75:76]
	v_add_f64 v[81:82], v[136:137], v[112:113]
	v_fma_f64 v[83:84], v[160:161], s[14:15], v[146:147]
	v_add_f64 v[89:90], v[162:163], v[164:165]
	v_add_f64 v[91:92], v[95:96], v[114:115]
	v_fma_f64 v[122:123], v[122:123], s[16:17], v[97:98]
	v_fma_f64 v[126:127], v[73:74], s[16:17], v[126:127]
	;; [unrolled: 1-line block ×5, first 2 shown]
	v_add_f64 v[138:139], v[81:82], v[118:119]
	v_add_f64 v[73:74], v[87:88], v[120:121]
	v_fma_f64 v[75:76], v[89:90], s[16:17], v[83:84]
	v_fma_f64 v[81:82], v[91:92], -0.5, v[79:80]
	v_add_f64 v[83:84], v[85:86], -v[118:119]
	v_fma_f64 v[91:92], v[160:161], s[20:21], v[97:98]
	v_fma_f64 v[97:98], v[158:159], s[14:15], v[134:135]
	v_add_f64 v[134:135], v[79:80], v[87:88]
	v_add_f64 v[140:141], v[93:94], -v[112:113]
	v_fma_f64 v[73:74], v[73:74], -0.5, v[79:80]
	v_add_f64 v[79:80], v[93:94], -v[85:86]
	v_add_f64 v[85:86], v[112:113], -v[118:119]
	v_fma_f64 v[93:94], v[83:84], s[18:19], v[81:82]
	v_add_f64 v[112:113], v[87:88], -v[95:96]
	v_add_f64 v[118:119], v[120:121], -v[114:115]
	v_fma_f64 v[77:78], v[160:161], s[2:3], v[77:78]
	v_fma_f64 v[81:82], v[83:84], s[2:3], v[81:82]
	v_add_f64 v[134:135], v[134:135], v[95:96]
	v_fma_f64 v[142:143], v[140:141], s[2:3], v[73:74]
	v_add_f64 v[87:88], v[95:96], -v[87:88]
	v_fma_f64 v[93:94], v[140:141], s[20:21], v[93:94]
	v_add_f64 v[95:96], v[114:115], -v[120:121]
	v_add_f64 v[112:113], v[112:113], v[118:119]
	v_fma_f64 v[73:74], v[140:141], s[18:19], v[73:74]
	v_add_f64 v[79:80], v[79:80], v[85:86]
	v_fma_f64 v[77:78], v[158:159], s[20:21], v[77:78]
	v_fma_f64 v[81:82], v[140:141], s[14:15], v[81:82]
	;; [unrolled: 1-line block ×3, first 2 shown]
	v_add_f64 v[87:88], v[87:88], v[95:96]
	v_fma_f64 v[93:94], v[112:113], s[16:17], v[93:94]
	v_fma_f64 v[73:74], v[83:84], s[14:15], v[73:74]
	v_fma_f64 v[83:84], v[89:90], s[16:17], v[91:92]
	v_fma_f64 v[89:90], v[79:80], s[16:17], v[97:98]
	v_fma_f64 v[79:80], v[79:80], s[16:17], v[77:78]
	v_fma_f64 v[77:78], v[112:113], s[16:17], v[81:82]
	v_add_f64 v[95:96], v[134:135], v[114:115]
	v_fma_f64 v[85:86], v[87:88], s[16:17], v[85:86]
	v_mul_f64 v[81:82], v[93:94], s[14:15]
	v_fma_f64 v[87:88], v[87:88], s[16:17], v[73:74]
	v_mul_f64 v[112:113], v[83:84], s[22:23]
	v_add_f64 v[73:74], v[116:117], v[138:139]
	v_mul_f64 v[97:98], v[79:80], s[16:17]
	v_add_f64 v[95:96], v[95:96], v[120:121]
	v_mul_f64 v[91:92], v[85:86], s[2:3]
	v_fma_f64 v[114:115], v[75:76], s[22:23], v[81:82]
	v_mul_f64 v[75:76], v[75:76], s[20:21]
	v_mul_f64 v[81:82], v[89:90], s[18:19]
	;; [unrolled: 1-line block ×4, first 2 shown]
	v_fma_f64 v[140:141], v[87:88], s[2:3], -v[97:98]
	v_fma_f64 v[112:113], v[77:78], s[14:15], -v[112:113]
	v_fma_f64 v[134:135], v[89:90], s[16:17], v[91:92]
	v_add_f64 v[77:78], v[128:129], v[114:115]
	v_fma_f64 v[142:143], v[93:94], s[22:23], v[75:76]
	v_fma_f64 v[144:145], v[85:86], s[16:17], v[81:82]
	v_fma_f64 v[146:147], v[79:80], s[18:19], -v[118:119]
	v_fma_f64 v[148:149], v[83:84], s[20:21], -v[120:121]
	v_add_f64 v[75:76], v[101:102], v[95:96]
	v_add_f64 v[85:86], v[130:131], v[140:141]
	;; [unrolled: 1-line block ×8, first 2 shown]
	v_add_f64 v[93:94], v[116:117], -v[138:139]
	v_add_f64 v[95:96], v[101:102], -v[95:96]
	;; [unrolled: 1-line block ×10, first 2 shown]
	ds_write_b128 v225, v[73:76]
	ds_write_b128 v225, v[77:80] offset:48
	ds_write_b128 v225, v[81:84] offset:96
	;; [unrolled: 1-line block ×9, first 2 shown]
	s_waitcnt lgkmcnt(0)
	s_barrier
	ds_read_b128 v[120:123], v219
	ds_read_b128 v[116:119], v219 offset:1296
	ds_read_b128 v[136:139], v219 offset:8640
	;; [unrolled: 1-line block ×8, first 2 shown]
	s_and_saveexec_b64 s[2:3], s[0:1]
	s_cbranch_execz .LBB0_9
; %bb.8:
	ds_read_b128 v[112:115], v219 offset:3888
	ds_read_b128 v[104:107], v219 offset:8208
	;; [unrolled: 1-line block ×3, first 2 shown]
.LBB0_9:
	s_or_b64 exec, exec, s[2:3]
	s_movk_i32 s2, 0x89
	v_mul_lo_u16_sdwa v72, v220, s2 dst_sel:DWORD dst_unused:UNUSED_PAD src0_sel:BYTE_0 src1_sel:DWORD
	v_mul_lo_u16_sdwa v80, v195, s2 dst_sel:DWORD dst_unused:UNUSED_PAD src0_sel:BYTE_0 src1_sel:DWORD
	v_lshrrev_b16_e32 v187, 12, v72
	v_lshrrev_b16_e32 v189, 12, v80
	v_mul_lo_u16_e32 v72, 30, v187
	v_mul_lo_u16_e32 v80, 30, v189
	v_sub_u16_e32 v72, v220, v72
	v_sub_u16_e32 v80, v195, v80
	v_and_b32_e32 v188, 0xff, v72
	v_and_b32_e32 v190, 0xff, v80
	v_lshlrev_b32_e32 v76, 5, v188
	v_lshlrev_b32_e32 v84, 5, v190
	global_load_dwordx4 v[72:75], v76, s[4:5] offset:448
	s_nop 0
	global_load_dwordx4 v[76:79], v76, s[4:5] offset:432
	s_nop 0
	;; [unrolled: 2-line block ×3, first 2 shown]
	global_load_dwordx4 v[84:87], v84, s[4:5] offset:432
	v_mul_lo_u16_sdwa v88, v194, s2 dst_sel:DWORD dst_unused:UNUSED_PAD src0_sel:BYTE_0 src1_sel:DWORD
	s_mov_b32 s2, 0x8889
	v_mul_u32_u24_sdwa v96, v192, s2 dst_sel:DWORD dst_unused:UNUSED_PAD src0_sel:WORD_0 src1_sel:DWORD
	v_lshrrev_b32_e32 v96, 20, v96
	v_lshrrev_b16_e32 v191, 12, v88
	v_mul_lo_u16_e32 v96, 30, v96
	v_mul_lo_u16_e32 v88, 30, v191
	v_sub_u16_e32 v197, v192, v96
	v_sub_u16_e32 v88, v194, v88
	v_lshlrev_b16_e32 v96, 5, v197
	v_and_b32_e32 v196, 0xff, v88
	v_mov_b32_e32 v97, s5
	v_add_co_u32_e64 v96, s[2:3], s4, v96
	v_lshlrev_b32_e32 v92, 5, v196
	v_addc_co_u32_e64 v97, s[2:3], 0, v97, s[2:3]
	global_load_dwordx4 v[88:91], v92, s[4:5] offset:448
	s_nop 0
	global_load_dwordx4 v[92:95], v92, s[4:5] offset:432
	s_nop 0
	global_load_dwordx4 v[100:103], v[96:97], off offset:432
	s_nop 0
	global_load_dwordx4 v[96:99], v[96:97], off offset:448
	s_mov_b32 s2, 0xe8584caa
	s_mov_b32 s3, 0x3febb67a
	;; [unrolled: 1-line block ×4, first 2 shown]
	s_waitcnt vmcnt(0) lgkmcnt(0)
	s_barrier
	v_lshlrev_b32_e32 v226, 4, v197
	v_mul_f64 v[156:157], v[138:139], v[74:75]
	v_mul_f64 v[166:167], v[128:129], v[82:83]
	;; [unrolled: 1-line block ×8, first 2 shown]
	v_fma_f64 v[136:137], v[136:137], v[72:73], -v[156:157]
	v_fma_f64 v[130:131], v[130:131], v[80:81], v[166:167]
	v_fma_f64 v[146:147], v[146:147], v[84:85], v[162:163]
	v_fma_f64 v[148:149], v[148:149], v[76:77], -v[152:153]
	v_fma_f64 v[150:151], v[150:151], v[76:77], v[154:155]
	v_fma_f64 v[138:139], v[138:139], v[72:73], v[158:159]
	v_fma_f64 v[144:145], v[144:145], v[84:85], -v[160:161]
	v_fma_f64 v[128:129], v[128:129], v[80:81], -v[164:165]
	v_add_f64 v[164:165], v[146:147], -v[130:131]
	v_mul_f64 v[172:173], v[134:135], v[90:91]
	v_mul_f64 v[168:169], v[142:143], v[94:95]
	v_mul_f64 v[170:171], v[140:141], v[94:95]
	v_mul_f64 v[174:175], v[132:133], v[90:91]
	v_mul_f64 v[176:177], v[106:107], v[102:103]
	v_mul_f64 v[178:179], v[104:105], v[102:103]
	v_mul_f64 v[180:181], v[110:111], v[98:99]
	v_mul_f64 v[182:183], v[108:109], v[98:99]
	v_fma_f64 v[132:133], v[132:133], v[88:89], -v[172:173]
	v_fma_f64 v[140:141], v[140:141], v[92:93], -v[168:169]
	v_fma_f64 v[142:143], v[142:143], v[92:93], v[170:171]
	v_fma_f64 v[134:135], v[134:135], v[88:89], v[174:175]
	v_fma_f64 v[152:153], v[104:105], v[100:101], -v[176:177]
	v_fma_f64 v[104:105], v[106:107], v[100:101], v[178:179]
	v_fma_f64 v[154:155], v[108:109], v[96:97], -v[180:181]
	v_fma_f64 v[158:159], v[110:111], v[96:97], v[182:183]
	v_add_f64 v[166:167], v[118:119], v[146:147]
	v_add_f64 v[146:147], v[146:147], v[130:131]
	;; [unrolled: 1-line block ×3, first 2 shown]
	v_add_f64 v[156:157], v[150:151], -v[138:139]
	v_add_f64 v[110:111], v[122:123], v[150:151]
	v_add_f64 v[150:151], v[150:151], v[138:139]
	;; [unrolled: 1-line block ×5, first 2 shown]
	v_add_f64 v[144:145], v[144:145], -v[128:129]
	v_add_f64 v[168:169], v[124:125], v[140:141]
	v_add_f64 v[170:171], v[140:141], v[132:133]
	v_add_f64 v[172:173], v[142:143], -v[134:135]
	v_add_f64 v[174:175], v[126:127], v[142:143]
	v_add_f64 v[142:143], v[142:143], v[134:135]
	;; [unrolled: 3-line block ×3, first 2 shown]
	v_fma_f64 v[118:119], v[146:147], -0.5, v[118:119]
	v_add_f64 v[148:149], v[148:149], -v[136:137]
	v_fma_f64 v[120:121], v[108:109], -0.5, v[120:121]
	v_fma_f64 v[122:123], v[150:151], -0.5, v[122:123]
	v_add_f64 v[178:179], v[112:113], v[152:153]
	v_add_f64 v[180:181], v[104:105], -v[158:159]
	v_add_f64 v[182:183], v[114:115], v[104:105]
	v_add_f64 v[104:105], v[106:107], v[136:137]
	;; [unrolled: 1-line block ×4, first 2 shown]
	v_fma_f64 v[136:137], v[170:171], -0.5, v[124:125]
	v_fma_f64 v[138:139], v[142:143], -0.5, v[126:127]
	;; [unrolled: 1-line block ×4, first 2 shown]
	v_fma_f64 v[126:127], v[144:145], s[14:15], v[118:119]
	v_fma_f64 v[130:131], v[144:145], s[2:3], v[118:119]
	v_add_f64 v[144:145], v[152:153], -v[154:155]
	v_add_f64 v[108:109], v[160:161], v[128:129]
	v_fma_f64 v[128:129], v[162:163], -0.5, v[116:117]
	v_fma_f64 v[112:113], v[156:157], s[2:3], v[120:121]
	v_fma_f64 v[114:115], v[148:149], s[14:15], v[122:123]
	;; [unrolled: 1-line block ×4, first 2 shown]
	v_add_f64 v[116:117], v[168:169], v[132:133]
	v_fma_f64 v[132:133], v[172:173], s[2:3], v[136:137]
	v_fma_f64 v[140:141], v[172:173], s[14:15], v[136:137]
	v_add_f64 v[118:119], v[174:175], v[134:135]
	v_fma_f64 v[134:135], v[176:177], s[14:15], v[138:139]
	v_fma_f64 v[142:143], v[176:177], s[2:3], v[138:139]
	v_add_f64 v[136:137], v[178:179], v[154:155]
	v_fma_f64 v[152:153], v[180:181], s[2:3], v[146:147]
	v_fma_f64 v[156:157], v[180:181], s[14:15], v[146:147]
	v_add_f64 v[138:139], v[182:183], v[158:159]
	v_fma_f64 v[154:155], v[144:145], s[14:15], v[150:151]
	v_fma_f64 v[158:159], v[144:145], s[2:3], v[150:151]
	v_fma_f64 v[124:125], v[164:165], s[2:3], v[128:129]
	v_fma_f64 v[128:129], v[164:165], s[14:15], v[128:129]
	v_mul_u32_u24_e32 v144, 0x5a, v187
	v_add_lshl_u32 v227, v144, v188, 4
	ds_write_b128 v227, v[104:107]
	ds_write_b128 v227, v[112:115] offset:480
	ds_write_b128 v227, v[120:123] offset:960
	v_mul_u32_u24_e32 v104, 0x5a, v189
	v_add_lshl_u32 v228, v104, v190, 4
	v_mul_u32_u24_e32 v104, 0x5a, v191
	v_add_lshl_u32 v229, v104, v196, 4
	ds_write_b128 v228, v[108:111]
	ds_write_b128 v228, v[124:127] offset:480
	ds_write_b128 v228, v[128:131] offset:960
	ds_write_b128 v229, v[116:119]
	ds_write_b128 v229, v[132:135] offset:480
	ds_write_b128 v229, v[140:143] offset:960
	s_and_saveexec_b64 s[2:3], s[0:1]
	s_cbranch_execz .LBB0_11
; %bb.10:
	ds_write_b128 v226, v[136:139] offset:11520
	ds_write_b128 v226, v[152:155] offset:12000
	;; [unrolled: 1-line block ×3, first 2 shown]
.LBB0_11:
	s_or_b64 exec, exec, s[2:3]
	s_waitcnt lgkmcnt(0)
	s_barrier
	ds_read_b128 v[144:147], v219
	ds_read_b128 v[140:143], v219 offset:1296
	ds_read_b128 v[168:171], v219 offset:8640
	;; [unrolled: 1-line block ×8, first 2 shown]
	s_and_saveexec_b64 s[2:3], s[0:1]
	s_cbranch_execz .LBB0_13
; %bb.12:
	ds_read_b128 v[136:139], v219 offset:3888
	ds_read_b128 v[152:155], v219 offset:8208
	;; [unrolled: 1-line block ×3, first 2 shown]
.LBB0_13:
	s_or_b64 exec, exec, s[2:3]
	v_add_co_u32_e64 v112, s[2:3], -9, v220
	v_addc_co_u32_e64 v113, s[2:3], 0, -1, s[2:3]
	v_cmp_gt_u16_e64 s[2:3], 9, v220
	v_cndmask_b32_e64 v199, v113, v184, s[2:3]
	v_cndmask_b32_e64 v198, v112, v195, s[2:3]
	v_lshlrev_b64 v[112:113], 5, v[198:199]
	v_mov_b32_e32 v186, s5
	v_add_co_u32_e64 v116, s[2:3], s4, v112
	v_addc_co_u32_e64 v117, s[2:3], v186, v113, s[2:3]
	v_lshlrev_b32_e32 v185, 5, v220
	s_movk_i32 s2, 0xb7
	global_load_dwordx4 v[104:107], v185, s[4:5] offset:1408
	global_load_dwordx4 v[108:111], v185, s[4:5] offset:1392
	global_load_dwordx4 v[112:115], v[116:117], off offset:1408
	s_nop 0
	global_load_dwordx4 v[116:119], v[116:117], off offset:1392
	v_mul_lo_u16_sdwa v120, v194, s2 dst_sel:DWORD dst_unused:UNUSED_PAD src0_sel:BYTE_0 src1_sel:DWORD
	s_movk_i32 s2, 0x2d83
	v_mul_u32_u24_sdwa v128, v192, s2 dst_sel:DWORD dst_unused:UNUSED_PAD src0_sel:WORD_0 src1_sel:DWORD
	v_lshrrev_b32_e32 v128, 20, v128
	v_lshrrev_b16_e32 v215, 14, v120
	v_mul_lo_u16_e32 v128, 0x5a, v128
	v_mul_lo_u16_e32 v120, 0x5a, v215
	v_sub_u16_e32 v239, v192, v128
	v_sub_u16_e32 v120, v194, v120
	v_lshlrev_b16_e32 v128, 5, v239
	v_and_b32_e32 v238, 0xff, v120
	v_add_co_u32_e64 v128, s[2:3], s4, v128
	v_lshlrev_b32_e32 v124, 5, v238
	v_addc_co_u32_e64 v129, s[2:3], 0, v186, s[2:3]
	global_load_dwordx4 v[120:123], v124, s[4:5] offset:1408
	s_nop 0
	global_load_dwordx4 v[124:127], v124, s[4:5] offset:1392
	s_nop 0
	global_load_dwordx4 v[132:135], v[128:129], off offset:1392
	s_nop 0
	global_load_dwordx4 v[128:131], v[128:129], off offset:1408
	v_add_co_u32_e64 v196, s[2:3], s4, v185
	v_addc_co_u32_e64 v197, s[2:3], 0, v186, s[2:3]
	s_mov_b32 s14, 0xe8584caa
	s_mov_b32 s15, 0x3febb67a
	;; [unrolled: 1-line block ×4, first 2 shown]
	v_cmp_lt_u16_e64 s[2:3], 8, v220
	s_waitcnt vmcnt(0) lgkmcnt(0)
	s_barrier
	v_mul_f64 v[188:189], v[170:171], v[106:107]
	v_mul_f64 v[184:185], v[182:183], v[110:111]
	;; [unrolled: 1-line block ×8, first 2 shown]
	v_fma_f64 v[168:169], v[168:169], v[104:105], -v[188:189]
	v_fma_f64 v[180:181], v[180:181], v[108:109], -v[184:185]
	v_fma_f64 v[182:183], v[182:183], v[108:109], v[186:187]
	v_fma_f64 v[170:171], v[170:171], v[104:105], v[190:191]
	v_fma_f64 v[176:177], v[176:177], v[116:117], -v[199:200]
	v_fma_f64 v[160:161], v[160:161], v[112:113], -v[203:204]
	v_fma_f64 v[178:179], v[178:179], v[116:117], v[201:202]
	v_fma_f64 v[162:163], v[162:163], v[112:113], v[205:206]
	v_mul_f64 v[211:212], v[166:167], v[122:123]
	v_mul_f64 v[207:208], v[174:175], v[126:127]
	;; [unrolled: 1-line block ×8, first 2 shown]
	v_fma_f64 v[164:165], v[164:165], v[120:121], -v[211:212]
	v_fma_f64 v[172:173], v[172:173], v[124:125], -v[207:208]
	v_fma_f64 v[174:175], v[174:175], v[124:125], v[209:210]
	v_fma_f64 v[184:185], v[166:167], v[120:121], v[213:214]
	v_fma_f64 v[186:187], v[152:153], v[132:133], -v[230:231]
	v_fma_f64 v[188:189], v[154:155], v[132:133], v[232:233]
	v_fma_f64 v[190:191], v[156:157], v[128:129], -v[234:235]
	v_fma_f64 v[199:200], v[158:159], v[128:129], v[236:237]
	v_add_f64 v[152:153], v[144:145], v[180:181]
	v_add_f64 v[154:155], v[180:181], v[168:169]
	;; [unrolled: 1-line block ×5, first 2 shown]
	v_add_f64 v[156:157], v[182:183], -v[170:171]
	v_add_f64 v[180:181], v[180:181], -v[168:169]
	v_add_f64 v[182:183], v[140:141], v[176:177]
	v_add_f64 v[203:204], v[178:179], -v[162:163]
	v_add_f64 v[205:206], v[142:143], v[178:179]
	v_add_f64 v[178:179], v[178:179], v[162:163]
	;; [unrolled: 1-line block ×4, first 2 shown]
	v_add_f64 v[211:212], v[174:175], -v[184:185]
	v_add_f64 v[213:214], v[150:151], v[174:175]
	v_add_f64 v[174:175], v[174:175], v[184:185]
	;; [unrolled: 1-line block ×5, first 2 shown]
	v_fma_f64 v[168:169], v[154:155], -0.5, v[144:145]
	v_add_f64 v[154:155], v[158:159], v[170:171]
	v_fma_f64 v[158:159], v[166:167], -0.5, v[146:147]
	v_fma_f64 v[166:167], v[201:202], -0.5, v[140:141]
	v_add_f64 v[176:177], v[176:177], -v[160:161]
	v_add_f64 v[172:173], v[172:173], -v[164:165]
	v_add_f64 v[144:145], v[182:183], v[160:161]
	v_fma_f64 v[142:143], v[178:179], -0.5, v[142:143]
	v_add_f64 v[140:141], v[207:208], v[164:165]
	v_fma_f64 v[170:171], v[209:210], -0.5, v[148:149]
	v_fma_f64 v[174:175], v[174:175], -0.5, v[150:151]
	v_fma_f64 v[150:151], v[180:181], s[16:17], v[158:159]
	v_fma_f64 v[158:159], v[180:181], s[14:15], v[158:159]
	;; [unrolled: 1-line block ×4, first 2 shown]
	v_add_f64 v[180:181], v[136:137], v[186:187]
	v_fma_f64 v[136:137], v[230:231], -0.5, v[136:137]
	v_add_f64 v[182:183], v[188:189], -v[199:200]
	v_add_f64 v[201:202], v[138:139], v[188:189]
	v_fma_f64 v[138:139], v[232:233], -0.5, v[138:139]
	v_add_f64 v[203:204], v[186:187], -v[190:191]
	v_add_f64 v[146:147], v[205:206], v[162:163]
	v_fma_f64 v[148:149], v[156:157], s[14:15], v[168:169]
	v_fma_f64 v[156:157], v[156:157], s[16:17], v[168:169]
	;; [unrolled: 1-line block ×6, first 2 shown]
	v_add_f64 v[142:143], v[213:214], v[184:185]
	v_fma_f64 v[170:171], v[172:173], s[16:17], v[174:175]
	v_fma_f64 v[178:179], v[172:173], s[14:15], v[174:175]
	v_add_f64 v[172:173], v[180:181], v[190:191]
	v_fma_f64 v[184:185], v[182:183], s[14:15], v[136:137]
	v_fma_f64 v[188:189], v[182:183], s[16:17], v[136:137]
	;; [unrolled: 3-line block ×3, first 2 shown]
	v_mov_b32_e32 v136, 0x10e
	v_cndmask_b32_e64 v136, 0, v136, s[2:3]
	v_add_lshl_u32 v231, v198, v136, 4
	v_mul_u32_u24_e32 v136, 0x10e, v215
	v_add_lshl_u32 v232, v136, v238, 4
	v_lshlrev_b32_e32 v230, 4, v239
	ds_write_b128 v219, v[152:155]
	ds_write_b128 v219, v[148:151] offset:1440
	ds_write_b128 v219, v[156:159] offset:2880
	ds_write_b128 v231, v[144:147]
	ds_write_b128 v231, v[160:163] offset:1440
	ds_write_b128 v231, v[164:167] offset:2880
	;; [unrolled: 3-line block ×3, first 2 shown]
	s_and_saveexec_b64 s[2:3], s[0:1]
	s_cbranch_execz .LBB0_15
; %bb.14:
	ds_write_b128 v230, v[172:175] offset:8640
	ds_write_b128 v230, v[184:187] offset:10080
	;; [unrolled: 1-line block ×3, first 2 shown]
.LBB0_15:
	s_or_b64 exec, exec, s[2:3]
	s_waitcnt lgkmcnt(0)
	s_barrier
	ds_read_b128 v[180:183], v219
	ds_read_b128 v[176:179], v219 offset:1296
	ds_read_b128 v[152:155], v219 offset:8640
	;; [unrolled: 1-line block ×8, first 2 shown]
	s_and_saveexec_b64 s[2:3], s[0:1]
	s_cbranch_execz .LBB0_17
; %bb.16:
	ds_read_b128 v[172:175], v219 offset:3888
	ds_read_b128 v[184:187], v219 offset:8208
	;; [unrolled: 1-line block ×3, first 2 shown]
.LBB0_17:
	s_or_b64 exec, exec, s[2:3]
	s_movk_i32 s14, 0x10b0
	v_add_co_u32_e64 v140, s[2:3], s14, v196
	v_addc_co_u32_e64 v141, s[2:3], 0, v197, s[2:3]
	s_movk_i32 s12, 0x1000
	v_add_co_u32_e64 v136, s[2:3], s12, v196
	v_addc_co_u32_e64 v137, s[2:3], 0, v197, s[2:3]
	global_load_dwordx4 v[136:139], v[136:137], off offset:176
	s_nop 0
	global_load_dwordx4 v[140:143], v[140:141], off offset:16
	v_mov_b32_e32 v212, s5
	s_mov_b32 s5, 0xbfebb67a
	s_waitcnt vmcnt(1) lgkmcnt(4)
	v_mul_f64 v[196:197], v[158:159], v[138:139]
	v_fma_f64 v[196:197], v[156:157], v[136:137], -v[196:197]
	v_mul_f64 v[156:157], v[156:157], v[138:139]
	v_fma_f64 v[198:199], v[158:159], v[136:137], v[156:157]
	s_waitcnt vmcnt(0)
	v_mul_f64 v[156:157], v[154:155], v[142:143]
	v_fma_f64 v[200:201], v[152:153], v[140:141], -v[156:157]
	v_mul_f64 v[152:153], v[152:153], v[142:143]
	v_fma_f64 v[202:203], v[154:155], v[140:141], v[152:153]
	v_lshlrev_b32_e32 v152, 5, v195
	v_add_co_u32_e64 v152, s[2:3], s4, v152
	v_addc_co_u32_e64 v153, s[2:3], 0, v212, s[2:3]
	v_add_co_u32_e64 v156, s[2:3], s14, v152
	v_addc_co_u32_e64 v157, s[2:3], 0, v153, s[2:3]
	;; [unrolled: 2-line block ×3, first 2 shown]
	global_load_dwordx4 v[152:155], v[152:153], off offset:176
	s_nop 0
	global_load_dwordx4 v[156:159], v[156:157], off offset:16
	s_waitcnt vmcnt(1) lgkmcnt(2)
	v_mul_f64 v[204:205], v[166:167], v[154:155]
	v_fma_f64 v[204:205], v[164:165], v[152:153], -v[204:205]
	v_mul_f64 v[164:165], v[164:165], v[154:155]
	v_fma_f64 v[206:207], v[166:167], v[152:153], v[164:165]
	s_waitcnt vmcnt(0)
	v_mul_f64 v[164:165], v[162:163], v[158:159]
	v_fma_f64 v[208:209], v[160:161], v[156:157], -v[164:165]
	v_mul_f64 v[160:161], v[160:161], v[158:159]
	v_fma_f64 v[210:211], v[162:163], v[156:157], v[160:161]
	v_lshlrev_b32_e32 v160, 5, v194
	v_add_co_u32_e64 v162, s[2:3], s4, v160
	v_addc_co_u32_e64 v163, s[2:3], 0, v212, s[2:3]
	v_add_co_u32_e64 v160, s[2:3], s14, v162
	v_addc_co_u32_e64 v161, s[2:3], 0, v163, s[2:3]
	;; [unrolled: 2-line block ×3, first 2 shown]
	global_load_dwordx4 v[164:167], v[162:163], off offset:176
	s_nop 0
	global_load_dwordx4 v[160:163], v[160:161], off offset:16
	s_movk_i32 s2, 0xffe5
	s_waitcnt vmcnt(1) lgkmcnt(1)
	v_mul_f64 v[194:195], v[150:151], v[166:167]
	v_fma_f64 v[214:215], v[148:149], v[164:165], -v[194:195]
	v_mul_f64 v[148:149], v[148:149], v[166:167]
	v_add_f64 v[194:195], v[204:205], v[208:209]
	v_fma_f64 v[233:234], v[150:151], v[164:165], v[148:149]
	s_waitcnt vmcnt(0) lgkmcnt(0)
	v_mul_f64 v[148:149], v[146:147], v[162:163]
	v_fma_f64 v[235:236], v[144:145], v[160:161], -v[148:149]
	v_mul_f64 v[144:145], v[144:145], v[162:163]
	v_fma_f64 v[237:238], v[146:147], v[160:161], v[144:145]
	v_add_co_u32_e64 v144, s[2:3], s2, v220
	v_addc_co_u32_e64 v145, s[2:3], 0, -1, s[2:3]
	v_cndmask_b32_e64 v145, v145, v193, s[0:1]
	v_cndmask_b32_e64 v144, v144, v192, s[0:1]
	v_lshlrev_b64 v[144:145], 5, v[144:145]
	v_add_co_u32_e64 v144, s[2:3], s4, v144
	v_addc_co_u32_e64 v145, s[2:3], v212, v145, s[2:3]
	v_add_co_u32_e64 v148, s[2:3], s14, v144
	v_addc_co_u32_e64 v149, s[2:3], 0, v145, s[2:3]
	;; [unrolled: 2-line block ×3, first 2 shown]
	global_load_dwordx4 v[144:147], v[144:145], off offset:176
	s_nop 0
	global_load_dwordx4 v[148:151], v[148:149], off offset:16
	s_mov_b32 s2, 0xe8584caa
	s_mov_b32 s3, 0x3febb67a
	;; [unrolled: 1-line block ×3, first 2 shown]
	s_waitcnt vmcnt(1)
	v_mul_f64 v[192:193], v[186:187], v[146:147]
	v_fma_f64 v[239:240], v[184:185], v[144:145], -v[192:193]
	v_mul_f64 v[184:185], v[184:185], v[146:147]
	v_add_f64 v[192:193], v[196:197], -v[200:201]
	v_fma_f64 v[241:242], v[186:187], v[144:145], v[184:185]
	s_waitcnt vmcnt(0)
	v_mul_f64 v[184:185], v[190:191], v[150:151]
	v_add_f64 v[186:187], v[196:197], v[200:201]
	v_fma_f64 v[243:244], v[188:189], v[148:149], -v[184:185]
	v_mul_f64 v[184:185], v[188:189], v[150:151]
	v_fma_f64 v[186:187], v[186:187], -0.5, v[180:181]
	v_add_f64 v[188:189], v[198:199], -v[202:203]
	v_fma_f64 v[245:246], v[190:191], v[148:149], v[184:185]
	v_add_f64 v[190:191], v[198:199], v[202:203]
	v_add_f64 v[184:185], v[180:181], v[196:197]
	v_fma_f64 v[180:181], v[188:189], s[2:3], v[186:187]
	v_fma_f64 v[188:189], v[188:189], s[4:5], v[186:187]
	v_add_f64 v[186:187], v[182:183], v[198:199]
	v_fma_f64 v[190:191], v[190:191], -0.5, v[182:183]
	v_add_f64 v[184:185], v[184:185], v[200:201]
	v_add_f64 v[186:187], v[186:187], v[202:203]
	v_fma_f64 v[182:183], v[192:193], s[4:5], v[190:191]
	v_fma_f64 v[190:191], v[192:193], s[2:3], v[190:191]
	v_add_f64 v[192:193], v[176:177], v[204:205]
	v_fma_f64 v[176:177], v[194:195], -0.5, v[176:177]
	v_add_f64 v[194:195], v[206:207], -v[210:211]
	v_add_f64 v[192:193], v[192:193], v[208:209]
	v_fma_f64 v[196:197], v[194:195], s[2:3], v[176:177]
	v_fma_f64 v[200:201], v[194:195], s[4:5], v[176:177]
	v_add_f64 v[176:177], v[178:179], v[206:207]
	v_add_f64 v[194:195], v[176:177], v[210:211]
	v_add_f64 v[176:177], v[206:207], v[210:211]
	v_fma_f64 v[176:177], v[176:177], -0.5, v[178:179]
	v_add_f64 v[178:179], v[204:205], -v[208:209]
	v_fma_f64 v[198:199], v[178:179], s[4:5], v[176:177]
	v_fma_f64 v[202:203], v[178:179], s[2:3], v[176:177]
	v_add_f64 v[176:177], v[168:169], v[214:215]
	v_add_f64 v[178:179], v[241:242], v[245:246]
	;; [unrolled: 1-line block ×4, first 2 shown]
	v_fma_f64 v[178:179], v[178:179], -0.5, v[174:175]
	v_fma_f64 v[168:169], v[176:177], -0.5, v[168:169]
	v_add_f64 v[176:177], v[233:234], -v[237:238]
	v_fma_f64 v[208:209], v[176:177], s[2:3], v[168:169]
	v_fma_f64 v[212:213], v[176:177], s[4:5], v[168:169]
	v_add_f64 v[168:169], v[170:171], v[233:234]
	v_add_f64 v[176:177], v[241:242], -v[245:246]
	v_add_f64 v[206:207], v[168:169], v[237:238]
	v_add_f64 v[168:169], v[233:234], v[237:238]
	v_add_f64 v[233:234], v[239:240], -v[243:244]
	v_fma_f64 v[168:169], v[168:169], -0.5, v[170:171]
	v_add_f64 v[170:171], v[214:215], -v[235:236]
	v_fma_f64 v[210:211], v[170:171], s[4:5], v[168:169]
	v_fma_f64 v[214:215], v[170:171], s[2:3], v[168:169]
	v_add_f64 v[170:171], v[239:240], v[243:244]
	v_add_f64 v[168:169], v[172:173], v[239:240]
	ds_write_b128 v219, v[184:187]
	ds_write_b128 v219, v[180:183] offset:4320
	ds_write_b128 v219, v[188:191] offset:8640
	;; [unrolled: 1-line block ×8, first 2 shown]
	v_fma_f64 v[170:171], v[170:171], -0.5, v[172:173]
	v_add_f64 v[168:169], v[168:169], v[243:244]
	v_fma_f64 v[172:173], v[176:177], s[2:3], v[170:171]
	v_fma_f64 v[176:177], v[176:177], s[4:5], v[170:171]
	v_add_f64 v[170:171], v[174:175], v[241:242]
	v_fma_f64 v[174:175], v[233:234], s[4:5], v[178:179]
	v_fma_f64 v[178:179], v[233:234], s[2:3], v[178:179]
	v_add_f64 v[170:171], v[170:171], v[245:246]
	s_and_saveexec_b64 s[2:3], s[0:1]
	s_cbranch_execz .LBB0_19
; %bb.18:
	ds_write_b128 v219, v[168:171] offset:3888
	ds_write_b128 v219, v[172:175] offset:8208
	;; [unrolled: 1-line block ×3, first 2 shown]
.LBB0_19:
	s_or_b64 exec, exec, s[2:3]
	v_mov_b32_e32 v180, s13
	v_addc_co_u32_e32 v197, vcc, 0, v180, vcc
	s_movk_i32 s2, 0x32a0
	v_add_co_u32_e32 v180, vcc, s2, v216
	v_addc_co_u32_e32 v181, vcc, 0, v197, vcc
	s_movk_i32 s4, 0x3000
	v_add_co_u32_e32 v186, vcc, s4, v216
	v_addc_co_u32_e32 v187, vcc, 0, v197, vcc
	s_waitcnt lgkmcnt(0)
	s_barrier
	global_load_dwordx4 v[186:189], v[186:187], off offset:672
	ds_read_b128 v[182:185], v219
	s_movk_i32 s2, 0x4000
	v_add_co_u32_e32 v194, vcc, s2, v216
	v_addc_co_u32_e32 v195, vcc, 0, v197, vcc
	s_movk_i32 s2, 0x5000
	v_add_co_u32_e32 v196, vcc, s2, v216
	v_addc_co_u32_e32 v197, vcc, 0, v197, vcc
	s_waitcnt vmcnt(0) lgkmcnt(0)
	v_mul_f64 v[190:191], v[184:185], v[188:189]
	v_fma_f64 v[190:191], v[182:183], v[186:187], -v[190:191]
	v_mul_f64 v[182:183], v[182:183], v[188:189]
	v_fma_f64 v[192:193], v[184:185], v[186:187], v[182:183]
	global_load_dwordx4 v[186:189], v[194:195], off offset:896
	ds_read_b128 v[182:185], v219 offset:4320
	ds_write_b128 v219, v[190:193]
	s_waitcnt vmcnt(0) lgkmcnt(1)
	v_mul_f64 v[190:191], v[184:185], v[188:189]
	v_fma_f64 v[190:191], v[182:183], v[186:187], -v[190:191]
	v_mul_f64 v[182:183], v[182:183], v[188:189]
	v_fma_f64 v[192:193], v[184:185], v[186:187], v[182:183]
	global_load_dwordx4 v[186:189], v[196:197], off offset:1120
	ds_read_b128 v[182:185], v219 offset:8640
	ds_write_b128 v219, v[190:193] offset:4320
	s_waitcnt vmcnt(0) lgkmcnt(1)
	v_mul_f64 v[190:191], v[184:185], v[188:189]
	v_fma_f64 v[190:191], v[182:183], v[186:187], -v[190:191]
	v_mul_f64 v[182:183], v[182:183], v[188:189]
	v_fma_f64 v[192:193], v[184:185], v[186:187], v[182:183]
	global_load_dwordx4 v[186:189], v[180:181], off offset:1296
	ds_read_b128 v[182:185], v219 offset:1296
	ds_write_b128 v219, v[190:193] offset:8640
	;; [unrolled: 8-line block ×7, first 2 shown]
	s_waitcnt vmcnt(0) lgkmcnt(1)
	v_mul_f64 v[190:191], v[184:185], v[188:189]
	v_fma_f64 v[190:191], v[182:183], v[186:187], -v[190:191]
	v_mul_f64 v[182:183], v[182:183], v[188:189]
	v_fma_f64 v[192:193], v[184:185], v[186:187], v[182:183]
	ds_write_b128 v219, v[190:193] offset:11232
	s_and_saveexec_b64 s[2:3], s[0:1]
	s_cbranch_execz .LBB0_21
; %bb.20:
	s_movk_i32 s5, 0x2000
	v_add_co_u32_e32 v190, vcc, s5, v180
	v_addc_co_u32_e32 v191, vcc, 0, v181, vcc
	global_load_dwordx4 v[182:185], v[180:181], off offset:3888
	v_add_co_u32_e32 v180, vcc, s4, v180
	v_addc_co_u32_e32 v181, vcc, 0, v181, vcc
	global_load_dwordx4 v[186:189], v[180:181], off offset:240
	s_nop 0
	global_load_dwordx4 v[190:193], v[190:191], off offset:16
	ds_read_b128 v[194:197], v219 offset:3888
	ds_read_b128 v[198:201], v219 offset:12528
	;; [unrolled: 1-line block ×3, first 2 shown]
	s_waitcnt vmcnt(2) lgkmcnt(2)
	v_mul_f64 v[180:181], v[196:197], v[184:185]
	v_mul_f64 v[184:185], v[194:195], v[184:185]
	s_waitcnt vmcnt(1) lgkmcnt(1)
	v_mul_f64 v[206:207], v[200:201], v[188:189]
	s_waitcnt vmcnt(0) lgkmcnt(0)
	v_mul_f64 v[208:209], v[204:205], v[192:193]
	v_mul_f64 v[192:193], v[202:203], v[192:193]
	v_mul_f64 v[210:211], v[198:199], v[188:189]
	v_fma_f64 v[180:181], v[194:195], v[182:183], -v[180:181]
	v_fma_f64 v[182:183], v[196:197], v[182:183], v[184:185]
	v_fma_f64 v[184:185], v[198:199], v[186:187], -v[206:207]
	v_fma_f64 v[188:189], v[202:203], v[190:191], -v[208:209]
	v_fma_f64 v[190:191], v[204:205], v[190:191], v[192:193]
	v_fma_f64 v[186:187], v[200:201], v[186:187], v[210:211]
	ds_write_b128 v219, v[180:183] offset:3888
	ds_write_b128 v219, v[188:191] offset:8208
	;; [unrolled: 1-line block ×3, first 2 shown]
.LBB0_21:
	s_or_b64 exec, exec, s[2:3]
	s_waitcnt lgkmcnt(0)
	s_barrier
	ds_read_b128 v[208:211], v219
	ds_read_b128 v[196:199], v219 offset:1296
	ds_read_b128 v[200:203], v219 offset:8640
	;; [unrolled: 1-line block ×8, first 2 shown]
	s_and_saveexec_b64 s[2:3], s[0:1]
	s_cbranch_execz .LBB0_23
; %bb.22:
	ds_read_b128 v[168:171], v219 offset:3888
	ds_read_b128 v[172:175], v219 offset:8208
	;; [unrolled: 1-line block ×3, first 2 shown]
.LBB0_23:
	s_or_b64 exec, exec, s[2:3]
	s_waitcnt lgkmcnt(4)
	v_add_f64 v[233:234], v[212:213], v[200:201]
	v_add_f64 v[235:236], v[208:209], v[212:213]
	v_add_f64 v[237:238], v[214:215], -v[202:203]
	v_add_f64 v[239:240], v[214:215], v[202:203]
	s_waitcnt lgkmcnt(2)
	v_add_f64 v[243:244], v[204:205], v[192:193]
	s_mov_b32 s2, 0xe8584caa
	s_mov_b32 s3, 0xbfebb67a
	;; [unrolled: 1-line block ×3, first 2 shown]
	v_fma_f64 v[233:234], v[233:234], -0.5, v[208:209]
	s_mov_b32 s4, s2
	v_add_f64 v[214:215], v[210:211], v[214:215]
	v_add_f64 v[241:242], v[212:213], -v[200:201]
	v_add_f64 v[245:246], v[206:207], v[194:195]
	v_fma_f64 v[239:240], v[239:240], -0.5, v[210:211]
	v_add_f64 v[200:201], v[235:236], v[200:201]
	v_fma_f64 v[235:236], v[243:244], -0.5, v[196:197]
	v_fma_f64 v[208:209], v[237:238], s[2:3], v[233:234]
	v_fma_f64 v[212:213], v[237:238], s[4:5], v[233:234]
	v_add_f64 v[233:234], v[196:197], v[204:205]
	v_add_f64 v[237:238], v[206:207], -v[194:195]
	v_add_f64 v[202:203], v[214:215], v[202:203]
	v_fma_f64 v[210:211], v[241:242], s[4:5], v[239:240]
	v_add_f64 v[206:207], v[198:199], v[206:207]
	v_fma_f64 v[243:244], v[245:246], -0.5, v[198:199]
	v_add_f64 v[245:246], v[204:205], -v[192:193]
	v_fma_f64 v[214:215], v[241:242], s[2:3], v[239:240]
	v_add_f64 v[192:193], v[233:234], v[192:193]
	v_fma_f64 v[196:197], v[237:238], s[2:3], v[235:236]
	s_waitcnt lgkmcnt(1)
	v_add_f64 v[233:234], v[184:185], v[188:189]
	v_fma_f64 v[204:205], v[237:238], s[4:5], v[235:236]
	s_waitcnt lgkmcnt(0)
	v_add_f64 v[235:236], v[188:189], v[180:181]
	v_add_f64 v[237:238], v[190:191], v[182:183]
	;; [unrolled: 1-line block ×5, first 2 shown]
	v_fma_f64 v[198:199], v[245:246], s[4:5], v[243:244]
	v_fma_f64 v[206:207], v[245:246], s[2:3], v[243:244]
	v_add_f64 v[233:234], v[233:234], v[180:181]
	v_fma_f64 v[184:185], v[235:236], -0.5, v[184:185]
	v_add_f64 v[235:236], v[190:191], -v[182:183]
	v_add_f64 v[190:191], v[186:187], v[190:191]
	v_fma_f64 v[186:187], v[237:238], -0.5, v[186:187]
	v_add_f64 v[180:181], v[188:189], -v[180:181]
	v_fma_f64 v[243:244], v[239:240], -0.5, v[168:169]
	v_add_f64 v[245:246], v[174:175], -v[178:179]
	;; [unrolled: 2-line block ×3, first 2 shown]
	v_fma_f64 v[188:189], v[235:236], s[2:3], v[184:185]
	v_fma_f64 v[237:238], v[235:236], s[4:5], v[184:185]
	v_add_f64 v[235:236], v[190:191], v[182:183]
	v_fma_f64 v[190:191], v[180:181], s[4:5], v[186:187]
	v_fma_f64 v[239:240], v[180:181], s[2:3], v[186:187]
	v_fma_f64 v[180:181], v[245:246], s[2:3], v[243:244]
	v_fma_f64 v[184:185], v[245:246], s[4:5], v[243:244]
	v_fma_f64 v[182:183], v[247:248], s[4:5], v[241:242]
	v_fma_f64 v[186:187], v[247:248], s[2:3], v[241:242]
	s_barrier
	ds_write_b128 v221, v[200:203]
	ds_write_b128 v221, v[208:211] offset:16
	ds_write_b128 v221, v[212:215] offset:32
	ds_write_b128 v222, v[192:195]
	ds_write_b128 v222, v[196:199] offset:16
	ds_write_b128 v222, v[204:207] offset:32
	;; [unrolled: 3-line block ×3, first 2 shown]
	s_and_saveexec_b64 s[2:3], s[0:1]
	s_cbranch_execz .LBB0_25
; %bb.24:
	v_add_f64 v[170:171], v[170:171], v[174:175]
	v_add_f64 v[168:169], v[168:169], v[172:173]
	v_lshlrev_b32_e32 v172, 4, v224
	v_add_f64 v[170:171], v[170:171], v[178:179]
	v_add_f64 v[168:169], v[168:169], v[176:177]
	ds_write_b128 v172, v[180:183] offset:16
	ds_write_b128 v172, v[168:171]
	ds_write_b128 v172, v[184:187] offset:32
.LBB0_25:
	s_or_b64 exec, exec, s[2:3]
	s_waitcnt lgkmcnt(0)
	s_barrier
	ds_read_b128 v[168:171], v219
	ds_read_b128 v[172:175], v219 offset:1296
	ds_read_b128 v[176:179], v219 offset:2592
	;; [unrolled: 1-line block ×5, first 2 shown]
	s_waitcnt lgkmcnt(4)
	v_mul_f64 v[221:222], v[54:55], v[174:175]
	v_mul_f64 v[54:55], v[54:55], v[172:173]
	s_waitcnt lgkmcnt(3)
	v_mul_f64 v[223:224], v[46:47], v[178:179]
	v_mul_f64 v[46:47], v[46:47], v[176:177]
	ds_read_b128 v[200:203], v219 offset:7776
	ds_read_b128 v[204:207], v219 offset:9072
	;; [unrolled: 1-line block ×4, first 2 shown]
	s_mov_b32 s4, 0x134454ff
	s_mov_b32 s5, 0xbfee6f0e
	v_fma_f64 v[172:173], v[52:53], v[172:173], v[221:222]
	v_fma_f64 v[52:53], v[52:53], v[174:175], -v[54:55]
	s_waitcnt lgkmcnt(6)
	v_mul_f64 v[54:55], v[42:43], v[190:191]
	v_mul_f64 v[42:43], v[42:43], v[188:189]
	v_fma_f64 v[174:175], v[44:45], v[176:177], v[223:224]
	s_waitcnt lgkmcnt(5)
	v_mul_f64 v[176:177], v[38:39], v[194:195]
	v_fma_f64 v[44:45], v[44:45], v[178:179], -v[46:47]
	v_mul_f64 v[38:39], v[38:39], v[192:193]
	s_waitcnt lgkmcnt(4)
	v_mul_f64 v[46:47], v[66:67], v[198:199]
	s_waitcnt lgkmcnt(3)
	v_mul_f64 v[178:179], v[58:59], v[202:203]
	v_fma_f64 v[54:55], v[40:41], v[188:189], v[54:55]
	v_fma_f64 v[40:41], v[40:41], v[190:191], -v[42:43]
	v_mul_f64 v[42:43], v[66:67], v[196:197]
	v_fma_f64 v[66:67], v[36:37], v[192:193], v[176:177]
	v_add_f64 v[176:177], v[168:169], v[174:175]
	v_fma_f64 v[36:37], v[36:37], v[194:195], -v[38:39]
	v_fma_f64 v[38:39], v[64:65], v[196:197], v[46:47]
	v_fma_f64 v[46:47], v[56:57], v[200:201], v[178:179]
	s_waitcnt lgkmcnt(1)
	v_mul_f64 v[178:179], v[62:63], v[208:209]
	v_mul_f64 v[62:63], v[62:63], v[210:211]
	v_fma_f64 v[42:43], v[64:65], v[198:199], -v[42:43]
	v_mul_f64 v[58:59], v[58:59], v[200:201]
	v_add_f64 v[64:65], v[176:177], v[66:67]
	v_mul_f64 v[176:177], v[50:51], v[206:207]
	v_mul_f64 v[50:51], v[50:51], v[204:205]
	v_add_f64 v[188:189], v[66:67], v[46:47]
	v_fma_f64 v[178:179], v[60:61], v[210:211], -v[178:179]
	v_fma_f64 v[60:61], v[60:61], v[208:209], v[62:63]
	s_waitcnt lgkmcnt(0)
	v_mul_f64 v[62:63], v[70:71], v[214:215]
	v_mul_f64 v[70:71], v[70:71], v[212:213]
	v_fma_f64 v[56:57], v[56:57], v[202:203], -v[58:59]
	v_fma_f64 v[58:59], v[48:49], v[204:205], v[176:177]
	v_fma_f64 v[48:49], v[48:49], v[206:207], -v[50:51]
	v_fma_f64 v[176:177], v[188:189], -0.5, v[168:169]
	v_add_f64 v[188:189], v[44:45], -v[178:179]
	v_add_f64 v[192:193], v[174:175], -v[66:67]
	v_fma_f64 v[50:51], v[68:69], v[212:213], v[62:63]
	v_fma_f64 v[62:63], v[68:69], v[214:215], -v[70:71]
	v_add_f64 v[68:69], v[174:175], v[60:61]
	v_add_f64 v[194:195], v[60:61], -v[46:47]
	s_mov_b32 s3, 0x3fee6f0e
	s_mov_b32 s2, s4
	v_add_f64 v[64:65], v[64:65], v[46:47]
	v_fma_f64 v[70:71], v[188:189], s[4:5], v[176:177]
	v_add_f64 v[190:191], v[36:37], -v[56:57]
	v_fma_f64 v[176:177], v[188:189], s[2:3], v[176:177]
	v_fma_f64 v[68:69], v[68:69], -0.5, v[168:169]
	v_add_f64 v[168:169], v[192:193], v[194:195]
	v_add_f64 v[192:193], v[36:37], v[56:57]
	s_mov_b32 s16, 0x4755a5e
	s_mov_b32 s17, 0xbfe2cf23
	;; [unrolled: 1-line block ×4, first 2 shown]
	v_add_f64 v[64:65], v[64:65], v[60:61]
	v_fma_f64 v[70:71], v[190:191], s[16:17], v[70:71]
	v_fma_f64 v[176:177], v[190:191], s[12:13], v[176:177]
	;; [unrolled: 1-line block ×3, first 2 shown]
	v_add_f64 v[196:197], v[66:67], -v[174:175]
	v_add_f64 v[198:199], v[46:47], -v[60:61]
	v_add_f64 v[200:201], v[170:171], v[44:45]
	v_fma_f64 v[192:193], v[192:193], -0.5, v[170:171]
	v_add_f64 v[60:61], v[174:175], -v[60:61]
	s_mov_b32 s14, 0x372fe950
	s_mov_b32 s15, 0x3fd3c6ef
	v_fma_f64 v[70:71], v[168:169], s[14:15], v[70:71]
	v_fma_f64 v[174:175], v[168:169], s[14:15], v[176:177]
	;; [unrolled: 1-line block ×3, first 2 shown]
	v_add_f64 v[176:177], v[196:197], v[198:199]
	v_fma_f64 v[68:69], v[190:191], s[4:5], v[68:69]
	v_add_f64 v[190:191], v[200:201], v[36:37]
	v_fma_f64 v[194:195], v[60:61], s[2:3], v[192:193]
	v_add_f64 v[46:47], v[66:67], -v[46:47]
	v_add_f64 v[66:67], v[44:45], -v[36:37]
	;; [unrolled: 1-line block ×3, first 2 shown]
	v_fma_f64 v[192:193], v[60:61], s[4:5], v[192:193]
	v_add_f64 v[198:199], v[44:45], v[178:179]
	v_fma_f64 v[68:69], v[188:189], s[12:13], v[68:69]
	v_add_f64 v[188:189], v[190:191], v[56:57]
	v_add_f64 v[190:191], v[38:39], v[58:59]
	v_fma_f64 v[194:195], v[46:47], s[12:13], v[194:195]
	v_fma_f64 v[168:169], v[176:177], s[14:15], v[168:169]
	v_add_f64 v[66:67], v[66:67], v[196:197]
	v_fma_f64 v[192:193], v[46:47], s[16:17], v[192:193]
	v_fma_f64 v[170:171], v[198:199], -0.5, v[170:171]
	v_fma_f64 v[176:177], v[176:177], s[14:15], v[68:69]
	v_add_f64 v[68:69], v[172:173], v[54:55]
	v_fma_f64 v[190:191], v[190:191], -0.5, v[172:173]
	v_add_f64 v[196:197], v[40:41], -v[62:63]
	v_add_f64 v[36:37], v[36:37], -v[44:45]
	v_fma_f64 v[194:195], v[66:67], s[14:15], v[194:195]
	v_fma_f64 v[192:193], v[66:67], s[14:15], v[192:193]
	;; [unrolled: 1-line block ×3, first 2 shown]
	v_add_f64 v[44:45], v[56:57], -v[178:179]
	v_fma_f64 v[46:47], v[46:47], s[2:3], v[170:171]
	v_add_f64 v[188:189], v[188:189], v[178:179]
	v_add_f64 v[56:57], v[68:69], v[38:39]
	v_fma_f64 v[68:69], v[196:197], s[4:5], v[190:191]
	v_add_f64 v[170:171], v[42:43], -v[48:49]
	v_add_f64 v[178:179], v[54:55], -v[38:39]
	;; [unrolled: 1-line block ×3, first 2 shown]
	v_add_f64 v[200:201], v[54:55], v[50:51]
	v_add_f64 v[202:203], v[42:43], v[48:49]
	;; [unrolled: 1-line block ×3, first 2 shown]
	v_fma_f64 v[44:45], v[60:61], s[16:17], v[46:47]
	v_fma_f64 v[66:67], v[60:61], s[12:13], v[66:67]
	v_add_f64 v[46:47], v[56:57], v[58:59]
	v_fma_f64 v[56:57], v[170:171], s[16:17], v[68:69]
	v_add_f64 v[60:61], v[178:179], v[198:199]
	v_fma_f64 v[68:69], v[200:201], -0.5, v[172:173]
	v_fma_f64 v[172:173], v[196:197], s[2:3], v[190:191]
	v_fma_f64 v[178:179], v[202:203], -0.5, v[52:53]
	v_add_f64 v[190:191], v[54:55], -v[50:51]
	v_fma_f64 v[200:201], v[36:37], s[14:15], v[44:45]
	v_add_f64 v[44:45], v[40:41], v[62:63]
	v_fma_f64 v[198:199], v[36:37], s[14:15], v[66:67]
	v_add_f64 v[202:203], v[38:39], -v[58:59]
	v_add_f64 v[204:205], v[40:41], -v[42:43]
	v_fma_f64 v[66:67], v[170:171], s[12:13], v[172:173]
	v_add_f64 v[206:207], v[62:63], -v[48:49]
	v_fma_f64 v[172:173], v[190:191], s[2:3], v[178:179]
	v_add_f64 v[36:37], v[46:47], v[50:51]
	v_fma_f64 v[44:45], v[44:45], -0.5, v[52:53]
	v_add_f64 v[52:53], v[52:53], v[40:41]
	v_fma_f64 v[46:47], v[170:171], s[2:3], v[68:69]
	v_add_f64 v[38:39], v[38:39], -v[54:55]
	v_add_f64 v[50:51], v[58:59], -v[50:51]
	v_fma_f64 v[54:55], v[170:171], s[4:5], v[68:69]
	v_fma_f64 v[58:59], v[202:203], s[12:13], v[172:173]
	v_add_f64 v[68:69], v[204:205], v[206:207]
	v_fma_f64 v[170:171], v[202:203], s[4:5], v[44:45]
	v_add_f64 v[40:41], v[42:43], -v[40:41]
	v_add_f64 v[172:173], v[48:49], -v[62:63]
	v_fma_f64 v[44:45], v[202:203], s[2:3], v[44:45]
	v_add_f64 v[42:43], v[52:53], v[42:43]
	v_fma_f64 v[52:53], v[190:191], s[4:5], v[178:179]
	v_fma_f64 v[46:47], v[196:197], s[16:17], v[46:47]
	v_add_f64 v[38:39], v[38:39], v[50:51]
	v_fma_f64 v[50:51], v[196:197], s[12:13], v[54:55]
	v_fma_f64 v[54:55], v[68:69], s[14:15], v[58:59]
	;; [unrolled: 1-line block ×3, first 2 shown]
	v_add_f64 v[40:41], v[40:41], v[172:173]
	v_fma_f64 v[44:45], v[190:191], s[16:17], v[44:45]
	v_add_f64 v[42:43], v[42:43], v[48:49]
	v_fma_f64 v[48:49], v[202:203], s[16:17], v[52:53]
	v_fma_f64 v[56:57], v[60:61], s[14:15], v[56:57]
	;; [unrolled: 1-line block ×4, first 2 shown]
	v_mul_f64 v[50:51], v[54:55], s[16:17]
	v_fma_f64 v[58:59], v[40:41], s[14:15], v[58:59]
	v_fma_f64 v[44:45], v[40:41], s[14:15], v[44:45]
	v_add_f64 v[62:63], v[42:43], v[62:63]
	v_fma_f64 v[42:43], v[68:69], s[14:15], v[48:49]
	s_mov_b32 s18, 0x9b97f4a8
	s_mov_b32 s19, 0x3fe9e377
	v_mul_f64 v[54:55], v[54:55], s[18:19]
	v_fma_f64 v[52:53], v[60:61], s[14:15], v[66:67]
	v_fma_f64 v[66:67], v[56:57], s[18:19], v[50:51]
	v_mul_f64 v[48:49], v[58:59], s[4:5]
	v_mul_f64 v[50:51], v[44:45], s[4:5]
	s_mov_b32 s5, 0xbfd3c6ef
	s_mov_b32 s4, s14
	v_mul_f64 v[58:59], v[58:59], s[14:15]
	v_mul_f64 v[60:61], v[42:43], s[16:17]
	s_mov_b32 s17, 0xbfe9e377
	s_mov_b32 s16, s18
	v_mul_f64 v[68:69], v[44:45], s[4:5]
	v_mul_f64 v[42:43], v[42:43], s[16:17]
	v_fma_f64 v[190:191], v[56:57], s[12:13], v[54:55]
	v_fma_f64 v[170:171], v[46:47], s[14:15], v[48:49]
	;; [unrolled: 1-line block ×5, first 2 shown]
	v_add_f64 v[40:41], v[64:65], v[36:37]
	v_fma_f64 v[38:39], v[38:39], s[2:3], v[68:69]
	v_fma_f64 v[202:203], v[52:53], s[12:13], v[42:43]
	v_add_f64 v[42:43], v[188:189], v[62:63]
	v_add_f64 v[44:45], v[70:71], v[66:67]
	;; [unrolled: 1-line block ×9, first 2 shown]
	v_add_f64 v[60:61], v[64:65], -v[36:37]
	v_add_f64 v[62:63], v[188:189], -v[62:63]
	;; [unrolled: 1-line block ×10, first 2 shown]
	s_barrier
	ds_write_b128 v225, v[40:43]
	ds_write_b128 v225, v[44:47] offset:48
	ds_write_b128 v225, v[48:51] offset:96
	ds_write_b128 v225, v[52:55] offset:144
	ds_write_b128 v225, v[56:59] offset:192
	ds_write_b128 v225, v[60:63] offset:240
	ds_write_b128 v225, v[64:67] offset:288
	ds_write_b128 v225, v[68:71] offset:336
	ds_write_b128 v225, v[168:171] offset:384
	ds_write_b128 v225, v[36:39] offset:432
	s_waitcnt lgkmcnt(0)
	s_barrier
	ds_read_b128 v[48:51], v219
	ds_read_b128 v[44:47], v219 offset:1296
	ds_read_b128 v[64:67], v219 offset:8640
	;; [unrolled: 1-line block ×8, first 2 shown]
	s_and_saveexec_b64 s[2:3], s[0:1]
	s_cbranch_execz .LBB0_27
; %bb.26:
	ds_read_b128 v[36:39], v219 offset:3888
	ds_read_b128 v[180:183], v219 offset:8208
	;; [unrolled: 1-line block ×3, first 2 shown]
.LBB0_27:
	s_or_b64 exec, exec, s[2:3]
	s_waitcnt lgkmcnt(4)
	v_mul_f64 v[172:173], v[78:79], v[170:171]
	v_mul_f64 v[78:79], v[78:79], v[168:169]
	;; [unrolled: 1-line block ×4, first 2 shown]
	s_waitcnt lgkmcnt(2)
	v_mul_f64 v[176:177], v[86:87], v[70:71]
	v_mul_f64 v[86:87], v[86:87], v[68:69]
	v_mul_f64 v[178:179], v[82:83], v[58:59]
	s_mov_b32 s2, 0xe8584caa
	v_fma_f64 v[168:169], v[76:77], v[168:169], v[172:173]
	v_fma_f64 v[76:77], v[76:77], v[170:171], -v[78:79]
	v_mul_f64 v[78:79], v[82:83], v[56:57]
	v_fma_f64 v[64:65], v[72:73], v[64:65], v[174:175]
	s_waitcnt lgkmcnt(1)
	v_mul_f64 v[82:83], v[94:95], v[62:63]
	v_fma_f64 v[66:67], v[72:73], v[66:67], -v[74:75]
	v_mul_f64 v[72:73], v[94:95], v[60:61]
	v_fma_f64 v[68:69], v[84:85], v[68:69], v[176:177]
	v_fma_f64 v[70:71], v[84:85], v[70:71], -v[86:87]
	v_fma_f64 v[74:75], v[80:81], v[56:57], v[178:179]
	v_fma_f64 v[78:79], v[80:81], v[58:59], -v[78:79]
	s_waitcnt lgkmcnt(0)
	v_mul_f64 v[58:59], v[90:91], v[52:53]
	v_mul_f64 v[56:57], v[90:91], v[54:55]
	v_fma_f64 v[82:83], v[92:93], v[60:61], v[82:83]
	v_fma_f64 v[84:85], v[92:93], v[62:63], -v[72:73]
	v_mul_f64 v[60:61], v[102:103], v[182:183]
	v_add_f64 v[72:73], v[168:169], v[64:65]
	v_mul_f64 v[62:63], v[102:103], v[180:181]
	v_mul_f64 v[80:81], v[98:99], v[184:185]
	v_fma_f64 v[54:55], v[88:89], v[54:55], -v[58:59]
	v_add_f64 v[58:59], v[48:49], v[168:169]
	v_fma_f64 v[52:53], v[88:89], v[52:53], v[56:57]
	v_mul_f64 v[56:57], v[98:99], v[186:187]
	v_fma_f64 v[86:87], v[100:101], v[180:181], v[60:61]
	v_fma_f64 v[60:61], v[72:73], -0.5, v[48:49]
	v_add_f64 v[72:73], v[76:77], v[66:67]
	v_fma_f64 v[88:89], v[100:101], v[182:183], -v[62:63]
	v_add_f64 v[62:63], v[76:77], -v[66:67]
	v_add_f64 v[48:49], v[58:59], v[64:65]
	v_add_f64 v[58:59], v[50:51], v[76:77]
	;; [unrolled: 1-line block ×3, first 2 shown]
	v_fma_f64 v[90:91], v[96:97], v[184:185], v[56:57]
	v_fma_f64 v[92:93], v[96:97], v[186:187], -v[80:81]
	v_fma_f64 v[72:73], v[72:73], -0.5, v[50:51]
	v_add_f64 v[64:65], v[168:169], -v[64:65]
	v_add_f64 v[80:81], v[44:45], v[68:69]
	v_add_f64 v[94:95], v[82:83], v[52:53]
	;; [unrolled: 1-line block ×4, first 2 shown]
	v_fma_f64 v[44:45], v[76:77], -0.5, v[44:45]
	v_add_f64 v[76:77], v[70:71], -v[78:79]
	v_add_f64 v[70:71], v[46:47], v[70:71]
	v_add_f64 v[96:97], v[68:69], -v[74:75]
	s_mov_b32 s3, 0xbfebb67a
	s_mov_b32 s5, 0x3febb67a
	;; [unrolled: 1-line block ×3, first 2 shown]
	v_fma_f64 v[46:47], v[66:67], -0.5, v[46:47]
	v_fma_f64 v[56:57], v[62:63], s[2:3], v[60:61]
	v_fma_f64 v[60:61], v[62:63], s[4:5], v[60:61]
	;; [unrolled: 1-line block ×4, first 2 shown]
	v_add_f64 v[64:65], v[80:81], v[74:75]
	v_fma_f64 v[68:69], v[76:77], s[2:3], v[44:45]
	v_add_f64 v[80:81], v[40:41], v[82:83]
	v_fma_f64 v[94:95], v[94:95], -0.5, v[40:41]
	v_add_f64 v[98:99], v[84:85], -v[54:55]
	v_fma_f64 v[72:73], v[76:77], s[4:5], v[44:45]
	v_add_f64 v[66:67], v[70:71], v[78:79]
	v_fma_f64 v[70:71], v[96:97], s[4:5], v[46:47]
	v_add_f64 v[44:45], v[84:85], v[54:55]
	;; [unrolled: 2-line block ×3, first 2 shown]
	v_add_f64 v[78:79], v[88:89], v[92:93]
	v_add_f64 v[40:41], v[80:81], v[52:53]
	v_fma_f64 v[76:77], v[98:99], s[2:3], v[94:95]
	v_fma_f64 v[80:81], v[98:99], s[4:5], v[94:95]
	v_add_f64 v[84:85], v[42:43], v[84:85]
	v_fma_f64 v[44:45], v[44:45], -0.5, v[42:43]
	v_add_f64 v[52:53], v[82:83], -v[52:53]
	v_add_f64 v[94:95], v[36:37], v[86:87]
	v_fma_f64 v[46:47], v[46:47], -0.5, v[36:37]
	v_add_f64 v[96:97], v[88:89], -v[92:93]
	;; [unrolled: 3-line block ×3, first 2 shown]
	v_add_f64 v[42:43], v[84:85], v[54:55]
	v_fma_f64 v[78:79], v[52:53], s[4:5], v[44:45]
	v_fma_f64 v[82:83], v[52:53], s[2:3], v[44:45]
	v_add_f64 v[36:37], v[94:95], v[90:91]
	v_fma_f64 v[44:45], v[96:97], s[2:3], v[46:47]
	v_fma_f64 v[52:53], v[96:97], s[4:5], v[46:47]
	;; [unrolled: 3-line block ×3, first 2 shown]
	s_barrier
	ds_write_b128 v227, v[48:51]
	ds_write_b128 v227, v[56:59] offset:480
	ds_write_b128 v227, v[60:63] offset:960
	ds_write_b128 v228, v[64:67]
	ds_write_b128 v228, v[68:71] offset:480
	ds_write_b128 v228, v[72:75] offset:960
	;; [unrolled: 3-line block ×3, first 2 shown]
	s_and_saveexec_b64 s[2:3], s[0:1]
	s_cbranch_execz .LBB0_29
; %bb.28:
	ds_write_b128 v226, v[36:39] offset:11520
	ds_write_b128 v226, v[44:47] offset:12000
	;; [unrolled: 1-line block ×3, first 2 shown]
.LBB0_29:
	s_or_b64 exec, exec, s[2:3]
	s_waitcnt lgkmcnt(0)
	s_barrier
	ds_read_b128 v[56:59], v219
	ds_read_b128 v[48:51], v219 offset:1296
	ds_read_b128 v[72:75], v219 offset:8640
	;; [unrolled: 1-line block ×8, first 2 shown]
	s_and_saveexec_b64 s[2:3], s[0:1]
	s_cbranch_execz .LBB0_31
; %bb.30:
	ds_read_b128 v[36:39], v219 offset:3888
	ds_read_b128 v[44:47], v219 offset:8208
	;; [unrolled: 1-line block ×3, first 2 shown]
.LBB0_31:
	s_or_b64 exec, exec, s[2:3]
	s_waitcnt lgkmcnt(4)
	v_mul_f64 v[84:85], v[110:111], v[82:83]
	v_mul_f64 v[86:87], v[110:111], v[80:81]
	;; [unrolled: 1-line block ×4, first 2 shown]
	s_waitcnt lgkmcnt(2)
	v_mul_f64 v[92:93], v[118:119], v[78:79]
	v_mul_f64 v[94:95], v[118:119], v[76:77]
	;; [unrolled: 1-line block ×3, first 2 shown]
	s_mov_b32 s2, 0xe8584caa
	v_fma_f64 v[80:81], v[108:109], v[80:81], v[84:85]
	v_fma_f64 v[82:83], v[108:109], v[82:83], -v[86:87]
	v_mul_f64 v[84:85], v[114:115], v[64:65]
	s_waitcnt lgkmcnt(1)
	v_mul_f64 v[86:87], v[126:127], v[70:71]
	v_fma_f64 v[72:73], v[104:105], v[72:73], v[88:89]
	v_fma_f64 v[74:75], v[104:105], v[74:75], -v[90:91]
	v_mul_f64 v[88:89], v[126:127], v[68:69]
	s_waitcnt lgkmcnt(0)
	v_mul_f64 v[90:91], v[122:123], v[62:63]
	v_fma_f64 v[76:77], v[116:117], v[76:77], v[92:93]
	v_fma_f64 v[78:79], v[116:117], v[78:79], -v[94:95]
	v_fma_f64 v[66:67], v[112:113], v[66:67], -v[84:85]
	v_fma_f64 v[84:85], v[124:125], v[68:69], v[86:87]
	v_mul_f64 v[68:69], v[122:123], v[60:61]
	v_fma_f64 v[64:65], v[112:113], v[64:65], v[96:97]
	v_fma_f64 v[86:87], v[124:125], v[70:71], -v[88:89]
	v_mul_f64 v[70:71], v[134:135], v[46:47]
	v_mul_f64 v[88:89], v[134:135], v[44:45]
	v_add_f64 v[92:93], v[80:81], v[72:73]
	v_fma_f64 v[90:91], v[120:121], v[60:61], v[90:91]
	v_mul_f64 v[60:61], v[130:131], v[54:55]
	v_mul_f64 v[94:95], v[130:131], v[52:53]
	v_fma_f64 v[96:97], v[120:121], v[62:63], -v[68:69]
	v_add_f64 v[62:63], v[56:57], v[80:81]
	v_fma_f64 v[44:45], v[132:133], v[44:45], v[70:71]
	v_fma_f64 v[46:47], v[132:133], v[46:47], -v[88:89]
	v_fma_f64 v[68:69], v[92:93], -0.5, v[56:57]
	v_add_f64 v[70:71], v[82:83], -v[74:75]
	v_fma_f64 v[88:89], v[128:129], v[52:53], v[60:61]
	v_fma_f64 v[92:93], v[128:129], v[54:55], -v[94:95]
	v_add_f64 v[54:55], v[82:83], v[74:75]
	v_add_f64 v[52:53], v[62:63], v[72:73]
	;; [unrolled: 1-line block ×4, first 2 shown]
	s_mov_b32 s3, 0xbfebb67a
	s_mov_b32 s4, s2
	v_fma_f64 v[56:57], v[70:71], s[2:3], v[68:69]
	v_add_f64 v[72:73], v[80:81], -v[72:73]
	v_fma_f64 v[94:95], v[54:55], -0.5, v[58:59]
	v_fma_f64 v[60:61], v[70:71], s[4:5], v[68:69]
	v_add_f64 v[54:55], v[62:63], v[74:75]
	v_add_f64 v[68:69], v[78:79], v[66:67]
	v_fma_f64 v[74:75], v[82:83], -0.5, v[48:49]
	v_add_f64 v[82:83], v[84:85], v[90:91]
	v_add_f64 v[70:71], v[48:49], v[76:77]
	v_add_f64 v[80:81], v[78:79], -v[66:67]
	v_fma_f64 v[58:59], v[72:73], s[4:5], v[94:95]
	v_fma_f64 v[62:63], v[72:73], s[2:3], v[94:95]
	v_add_f64 v[72:73], v[50:51], v[78:79]
	v_fma_f64 v[78:79], v[68:69], -0.5, v[50:51]
	v_add_f64 v[76:77], v[76:77], -v[64:65]
	v_add_f64 v[94:95], v[40:41], v[84:85]
	v_fma_f64 v[40:41], v[82:83], -0.5, v[40:41]
	v_add_f64 v[82:83], v[86:87], -v[96:97]
	v_add_f64 v[48:49], v[70:71], v[64:65]
	v_fma_f64 v[64:65], v[80:81], s[2:3], v[74:75]
	v_fma_f64 v[68:69], v[80:81], s[4:5], v[74:75]
	v_add_f64 v[50:51], v[72:73], v[66:67]
	v_fma_f64 v[66:67], v[76:77], s[4:5], v[78:79]
	v_add_f64 v[74:75], v[86:87], v[96:97]
	;; [unrolled: 2-line block ×3, first 2 shown]
	v_fma_f64 v[76:77], v[82:83], s[2:3], v[40:41]
	v_fma_f64 v[80:81], v[82:83], s[4:5], v[40:41]
	v_add_f64 v[40:41], v[46:47], v[92:93]
	v_add_f64 v[72:73], v[94:95], v[90:91]
	;; [unrolled: 1-line block ×3, first 2 shown]
	v_fma_f64 v[42:43], v[74:75], -0.5, v[42:43]
	v_add_f64 v[84:85], v[84:85], -v[90:91]
	v_add_f64 v[86:87], v[36:37], v[44:45]
	v_fma_f64 v[90:91], v[78:79], -0.5, v[36:37]
	v_add_f64 v[94:95], v[46:47], -v[92:93]
	v_add_f64 v[46:47], v[38:39], v[46:47]
	;; [unrolled: 3-line block ×3, first 2 shown]
	v_fma_f64 v[78:79], v[84:85], s[4:5], v[42:43]
	v_fma_f64 v[82:83], v[84:85], s[2:3], v[42:43]
	v_add_f64 v[36:37], v[86:87], v[88:89]
	v_fma_f64 v[40:41], v[94:95], s[2:3], v[90:91]
	v_fma_f64 v[44:45], v[94:95], s[4:5], v[90:91]
	v_add_f64 v[38:39], v[46:47], v[92:93]
	v_fma_f64 v[42:43], v[100:101], s[4:5], v[98:99]
	v_fma_f64 v[46:47], v[100:101], s[2:3], v[98:99]
	s_barrier
	ds_write_b128 v219, v[52:55]
	ds_write_b128 v219, v[56:59] offset:1440
	ds_write_b128 v219, v[60:63] offset:2880
	ds_write_b128 v231, v[48:51]
	ds_write_b128 v231, v[64:67] offset:1440
	ds_write_b128 v231, v[68:71] offset:2880
	;; [unrolled: 3-line block ×3, first 2 shown]
	s_and_saveexec_b64 s[2:3], s[0:1]
	s_cbranch_execz .LBB0_33
; %bb.32:
	ds_write_b128 v230, v[36:39] offset:8640
	ds_write_b128 v230, v[40:43] offset:10080
	;; [unrolled: 1-line block ×3, first 2 shown]
.LBB0_33:
	s_or_b64 exec, exec, s[2:3]
	s_waitcnt lgkmcnt(0)
	s_barrier
	ds_read_b128 v[56:59], v219
	ds_read_b128 v[52:55], v219 offset:1296
	ds_read_b128 v[76:79], v219 offset:8640
	;; [unrolled: 1-line block ×8, first 2 shown]
	s_and_saveexec_b64 s[2:3], s[0:1]
	s_cbranch_execz .LBB0_35
; %bb.34:
	ds_read_b128 v[36:39], v219 offset:3888
	ds_read_b128 v[40:43], v219 offset:8208
	;; [unrolled: 1-line block ×3, first 2 shown]
.LBB0_35:
	s_or_b64 exec, exec, s[2:3]
	s_waitcnt lgkmcnt(4)
	v_mul_f64 v[84:85], v[138:139], v[82:83]
	v_mul_f64 v[86:87], v[142:143], v[78:79]
	;; [unrolled: 1-line block ×4, first 2 shown]
	s_waitcnt lgkmcnt(2)
	v_mul_f64 v[92:93], v[154:155], v[74:75]
	v_mul_f64 v[96:97], v[158:159], v[66:67]
	;; [unrolled: 1-line block ×3, first 2 shown]
	s_waitcnt lgkmcnt(0)
	v_mul_f64 v[102:103], v[162:163], v[60:61]
	v_fma_f64 v[80:81], v[136:137], v[80:81], v[84:85]
	v_fma_f64 v[76:77], v[140:141], v[76:77], v[86:87]
	v_fma_f64 v[82:83], v[136:137], v[82:83], -v[88:89]
	v_fma_f64 v[78:79], v[140:141], v[78:79], -v[90:91]
	v_mul_f64 v[84:85], v[158:159], v[64:65]
	v_mul_f64 v[86:87], v[166:167], v[70:71]
	v_fma_f64 v[90:91], v[152:153], v[72:73], v[92:93]
	v_fma_f64 v[92:93], v[156:157], v[64:65], v[96:97]
	v_mul_f64 v[98:99], v[166:167], v[68:69]
	v_mul_f64 v[100:101], v[162:163], v[62:63]
	v_add_f64 v[88:89], v[80:81], v[76:77]
	v_add_f64 v[64:65], v[56:57], v[80:81]
	;; [unrolled: 1-line block ×3, first 2 shown]
	v_fma_f64 v[74:75], v[152:153], v[74:75], -v[94:95]
	v_fma_f64 v[84:85], v[156:157], v[66:67], -v[84:85]
	v_fma_f64 v[86:87], v[164:165], v[68:69], v[86:87]
	v_add_f64 v[68:69], v[82:83], -v[78:79]
	v_add_f64 v[82:83], v[58:59], v[82:83]
	v_fma_f64 v[94:95], v[160:161], v[62:63], -v[102:103]
	v_add_f64 v[62:63], v[90:91], v[92:93]
	v_fma_f64 v[70:71], v[164:165], v[70:71], -v[98:99]
	v_fma_f64 v[66:67], v[88:89], -0.5, v[56:57]
	v_fma_f64 v[88:89], v[160:161], v[60:61], v[100:101]
	v_add_f64 v[56:57], v[64:65], v[76:77]
	v_fma_f64 v[72:73], v[72:73], -0.5, v[58:59]
	v_add_f64 v[76:77], v[80:81], -v[76:77]
	v_add_f64 v[80:81], v[52:53], v[90:91]
	v_add_f64 v[58:59], v[82:83], v[78:79]
	v_add_f64 v[78:79], v[74:75], v[84:85]
	s_mov_b32 s2, 0xe8584caa
	s_mov_b32 s3, 0xbfebb67a
	;; [unrolled: 1-line block ×3, first 2 shown]
	v_fma_f64 v[96:97], v[62:63], -0.5, v[52:53]
	v_add_f64 v[98:99], v[74:75], -v[84:85]
	v_fma_f64 v[60:61], v[68:69], s[2:3], v[66:67]
	v_fma_f64 v[64:65], v[68:69], s[4:5], v[66:67]
	;; [unrolled: 1-line block ×4, first 2 shown]
	v_add_f64 v[52:53], v[80:81], v[92:93]
	v_add_f64 v[76:77], v[86:87], v[88:89]
	;; [unrolled: 1-line block ×4, first 2 shown]
	v_fma_f64 v[78:79], v[78:79], -0.5, v[54:55]
	v_add_f64 v[82:83], v[90:91], -v[92:93]
	v_fma_f64 v[68:69], v[98:99], s[2:3], v[96:97]
	v_fma_f64 v[72:73], v[98:99], s[4:5], v[96:97]
	v_add_f64 v[90:91], v[48:49], v[86:87]
	v_add_f64 v[98:99], v[50:51], v[70:71]
	v_fma_f64 v[92:93], v[76:77], -0.5, v[48:49]
	v_add_f64 v[96:97], v[70:71], -v[94:95]
	v_fma_f64 v[100:101], v[80:81], -0.5, v[50:51]
	v_add_f64 v[86:87], v[86:87], -v[88:89]
	v_add_f64 v[54:55], v[74:75], v[84:85]
	v_fma_f64 v[70:71], v[82:83], s[4:5], v[78:79]
	v_fma_f64 v[74:75], v[82:83], s[2:3], v[78:79]
	v_add_f64 v[48:49], v[90:91], v[88:89]
	v_add_f64 v[50:51], v[98:99], v[94:95]
	v_fma_f64 v[76:77], v[96:97], s[2:3], v[92:93]
	v_fma_f64 v[80:81], v[96:97], s[4:5], v[92:93]
	;; [unrolled: 1-line block ×4, first 2 shown]
	ds_write_b128 v219, v[56:59]
	ds_write_b128 v219, v[60:63] offset:4320
	ds_write_b128 v219, v[64:67] offset:8640
	;; [unrolled: 1-line block ×8, first 2 shown]
	s_and_saveexec_b64 s[12:13], s[0:1]
	s_cbranch_execz .LBB0_37
; %bb.36:
	v_mul_f64 v[48:49], v[146:147], v[40:41]
	v_mul_f64 v[50:51], v[150:151], v[44:45]
	;; [unrolled: 1-line block ×4, first 2 shown]
	v_fma_f64 v[42:43], v[144:145], v[42:43], -v[48:49]
	v_fma_f64 v[46:47], v[148:149], v[46:47], -v[50:51]
	v_fma_f64 v[40:41], v[144:145], v[40:41], v[52:53]
	v_fma_f64 v[44:45], v[148:149], v[44:45], v[54:55]
	v_add_f64 v[54:55], v[38:39], v[42:43]
	v_add_f64 v[48:49], v[42:43], v[46:47]
	v_add_f64 v[56:57], v[42:43], -v[46:47]
	v_add_f64 v[50:51], v[40:41], v[44:45]
	v_add_f64 v[52:53], v[40:41], -v[44:45]
	v_add_f64 v[40:41], v[36:37], v[40:41]
	v_fma_f64 v[48:49], v[48:49], -0.5, v[38:39]
	v_add_f64 v[38:39], v[54:55], v[46:47]
	v_fma_f64 v[50:51], v[50:51], -0.5, v[36:37]
	v_add_f64 v[36:37], v[40:41], v[44:45]
	v_fma_f64 v[46:47], v[52:53], s[4:5], v[48:49]
	v_fma_f64 v[42:43], v[52:53], s[2:3], v[48:49]
	;; [unrolled: 1-line block ×4, first 2 shown]
	ds_write_b128 v219, v[36:39] offset:3888
	ds_write_b128 v219, v[44:47] offset:8208
	;; [unrolled: 1-line block ×3, first 2 shown]
.LBB0_37:
	s_or_b64 exec, exec, s[12:13]
	s_waitcnt lgkmcnt(0)
	s_barrier
	ds_read_b128 v[36:39], v219
	ds_read_b128 v[40:43], v219 offset:1296
	v_mad_u64_u32 v[44:45], s[2:3], s10, v218, 0
	v_mov_b32_e32 v54, s7
	s_waitcnt lgkmcnt(1)
	v_mul_f64 v[46:47], v[6:7], v[38:39]
	v_mul_f64 v[6:7], v[6:7], v[36:37]
	s_mul_hi_u32 s7, s8, 0xfffffe35
	s_sub_i32 s7, s7, s8
	v_mad_u64_u32 v[48:49], s[2:3], s11, v218, v[45:46]
	v_fma_f64 v[36:37], v[4:5], v[36:37], v[46:47]
	v_fma_f64 v[6:7], v[4:5], v[38:39], -v[6:7]
	v_mov_b32_e32 v45, v48
	v_mad_u64_u32 v[48:49], s[2:3], s8, v220, 0
	s_mov_b32 s2, 0x30abee4d
	s_mov_b32 s3, 0x3f543a27
	v_mov_b32_e32 v4, v49
	v_mad_u64_u32 v[46:47], s[4:5], s9, v220, v[4:5]
	v_mul_f64 v[4:5], v[36:37], s[2:3]
	ds_read_b128 v[36:39], v219 offset:4320
	v_mov_b32_e32 v49, v46
	v_lshlrev_b64 v[50:51], 4, v[44:45]
	ds_read_b128 v[44:47], v219 offset:2592
	v_mul_f64 v[6:7], v[6:7], s[2:3]
	s_waitcnt lgkmcnt(1)
	v_mul_f64 v[52:53], v[30:31], v[38:39]
	v_mul_f64 v[30:31], v[30:31], v[36:37]
	v_add_co_u32_e32 v50, vcc, s6, v50
	v_lshlrev_b64 v[48:49], 4, v[48:49]
	v_addc_co_u32_e32 v51, vcc, v54, v51, vcc
	v_add_co_u32_e32 v48, vcc, v50, v48
	v_fma_f64 v[36:37], v[28:29], v[36:37], v[52:53]
	v_fma_f64 v[38:39], v[28:29], v[38:39], -v[30:31]
	ds_read_b128 v[28:31], v219 offset:8640
	v_addc_co_u32_e32 v49, vcc, v51, v49, vcc
	global_store_dwordx4 v[48:49], v[4:7], off
	s_mul_i32 s4, s9, 0x10e
	s_mul_hi_u32 s5, s8, 0x10e
	v_mul_f64 v[4:5], v[36:37], s[2:3]
	v_mul_f64 v[6:7], v[38:39], s[2:3]
	ds_read_b128 v[36:39], v219 offset:9936
	s_waitcnt lgkmcnt(1)
	v_mul_f64 v[50:51], v[2:3], v[30:31]
	v_mul_f64 v[2:3], v[2:3], v[28:29]
	s_add_i32 s5, s5, s4
	s_mul_i32 s4, s8, 0x10e
	s_lshl_b64 s[4:5], s[4:5], 4
	v_mov_b32_e32 v52, s5
	v_add_co_u32_e32 v48, vcc, s4, v48
	v_fma_f64 v[28:29], v[0:1], v[28:29], v[50:51]
	v_fma_f64 v[2:3], v[0:1], v[30:31], -v[2:3]
	v_mul_f64 v[30:31], v[14:15], v[42:43]
	v_mul_f64 v[14:15], v[14:15], v[40:41]
	v_addc_co_u32_e32 v49, vcc, v49, v52, vcc
	global_store_dwordx4 v[48:49], v[4:7], off
	s_mul_i32 s6, s9, 0xfffffe35
	v_mul_f64 v[0:1], v[28:29], s[2:3]
	v_mul_f64 v[2:3], v[2:3], s[2:3]
	v_add_co_u32_e32 v28, vcc, s4, v48
	v_addc_co_u32_e32 v29, vcc, v49, v52, vcc
	v_fma_f64 v[4:5], v[12:13], v[40:41], v[30:31]
	v_fma_f64 v[6:7], v[12:13], v[42:43], -v[14:15]
	ds_read_b128 v[12:15], v219 offset:6912
	global_store_dwordx4 v[28:29], v[0:3], off
	ds_read_b128 v[0:3], v219 offset:5616
	s_add_i32 s7, s7, s6
	s_mul_i32 s6, s8, 0xfffffe35
	s_lshl_b64 s[6:7], s[6:7], 4
	v_mul_f64 v[4:5], v[4:5], s[2:3]
	s_waitcnt lgkmcnt(0)
	v_mul_f64 v[30:31], v[10:11], v[2:3]
	v_mul_f64 v[10:11], v[10:11], v[0:1]
	;; [unrolled: 1-line block ×3, first 2 shown]
	v_mov_b32_e32 v40, s7
	v_fma_f64 v[0:1], v[8:9], v[0:1], v[30:31]
	v_fma_f64 v[2:3], v[8:9], v[2:3], -v[10:11]
	v_mul_f64 v[8:9], v[18:19], v[38:39]
	v_mul_f64 v[10:11], v[18:19], v[36:37]
	v_add_co_u32_e32 v18, vcc, s6, v28
	v_addc_co_u32_e32 v19, vcc, v29, v40, vcc
	global_store_dwordx4 v[18:19], v[4:7], off
	v_mul_f64 v[0:1], v[0:1], s[2:3]
	v_mul_f64 v[2:3], v[2:3], s[2:3]
	v_fma_f64 v[4:5], v[16:17], v[36:37], v[8:9]
	v_fma_f64 v[6:7], v[16:17], v[38:39], -v[10:11]
	v_mul_f64 v[8:9], v[22:23], v[46:47]
	v_mul_f64 v[10:11], v[22:23], v[44:45]
	v_add_co_u32_e32 v16, vcc, s4, v18
	v_addc_co_u32_e32 v17, vcc, v19, v52, vcc
	global_store_dwordx4 v[16:17], v[0:3], off
	v_mul_f64 v[18:19], v[26:27], v[14:15]
	v_mul_f64 v[0:1], v[4:5], s[2:3]
	;; [unrolled: 1-line block ×3, first 2 shown]
	ds_read_b128 v[4:7], v219 offset:11232
	v_fma_f64 v[8:9], v[20:21], v[44:45], v[8:9]
	v_fma_f64 v[10:11], v[20:21], v[46:47], -v[10:11]
	v_mul_f64 v[20:21], v[26:27], v[12:13]
	v_add_co_u32_e32 v16, vcc, s4, v16
	s_waitcnt lgkmcnt(0)
	v_mul_f64 v[22:23], v[34:35], v[6:7]
	v_mul_f64 v[26:27], v[34:35], v[4:5]
	v_addc_co_u32_e32 v17, vcc, v17, v52, vcc
	global_store_dwordx4 v[16:17], v[0:3], off
	v_add_co_u32_e32 v16, vcc, s6, v16
	v_mul_f64 v[0:1], v[8:9], s[2:3]
	v_mul_f64 v[2:3], v[10:11], s[2:3]
	v_fma_f64 v[8:9], v[24:25], v[12:13], v[18:19]
	v_fma_f64 v[10:11], v[24:25], v[14:15], -v[20:21]
	v_fma_f64 v[12:13], v[32:33], v[4:5], v[22:23]
	v_fma_f64 v[14:15], v[32:33], v[6:7], -v[26:27]
	v_addc_co_u32_e32 v17, vcc, v17, v40, vcc
	global_store_dwordx4 v[16:17], v[0:3], off
	v_mul_f64 v[4:5], v[8:9], s[2:3]
	v_mul_f64 v[6:7], v[10:11], s[2:3]
	v_mul_f64 v[8:9], v[12:13], s[2:3]
	v_mul_f64 v[10:11], v[14:15], s[2:3]
	v_add_co_u32_e32 v0, vcc, s4, v16
	v_addc_co_u32_e32 v1, vcc, v17, v52, vcc
	global_store_dwordx4 v[0:1], v[4:7], off
	v_add_co_u32_e32 v0, vcc, s4, v0
	v_addc_co_u32_e32 v1, vcc, v1, v52, vcc
	global_store_dwordx4 v[0:1], v[8:11], off
	s_and_b64 exec, exec, s[0:1]
	s_cbranch_execz .LBB0_39
; %bb.38:
	s_movk_i32 s0, 0x2000
	v_add_co_u32_e32 v6, vcc, s0, v216
	v_addc_co_u32_e32 v7, vcc, 0, v217, vcc
	s_movk_i32 s0, 0x3000
	global_load_dwordx4 v[2:5], v[216:217], off offset:3888
	v_add_co_u32_e32 v10, vcc, s0, v216
	global_load_dwordx4 v[6:9], v[6:7], off offset:16
	v_addc_co_u32_e32 v11, vcc, 0, v217, vcc
	global_load_dwordx4 v[10:13], v[10:11], off offset:240
	ds_read_b128 v[14:17], v219 offset:3888
	ds_read_b128 v[18:21], v219 offset:8208
	;; [unrolled: 1-line block ×3, first 2 shown]
	v_mov_b32_e32 v32, s7
	v_mov_b32_e32 v33, s5
	s_waitcnt vmcnt(2) lgkmcnt(2)
	v_mul_f64 v[26:27], v[16:17], v[4:5]
	v_mul_f64 v[4:5], v[14:15], v[4:5]
	s_waitcnt vmcnt(1) lgkmcnt(1)
	v_mul_f64 v[28:29], v[20:21], v[8:9]
	v_mul_f64 v[8:9], v[18:19], v[8:9]
	;; [unrolled: 3-line block ×3, first 2 shown]
	v_fma_f64 v[14:15], v[14:15], v[2:3], v[26:27]
	v_fma_f64 v[2:3], v[2:3], v[16:17], -v[4:5]
	v_fma_f64 v[4:5], v[18:19], v[6:7], v[28:29]
	v_fma_f64 v[6:7], v[6:7], v[20:21], -v[8:9]
	;; [unrolled: 2-line block ×3, first 2 shown]
	v_add_co_u32_e32 v12, vcc, s6, v0
	v_addc_co_u32_e32 v13, vcc, v1, v32, vcc
	v_mul_f64 v[0:1], v[14:15], s[2:3]
	v_mul_f64 v[2:3], v[2:3], s[2:3]
	;; [unrolled: 1-line block ×6, first 2 shown]
	v_add_co_u32_e32 v14, vcc, s4, v12
	v_addc_co_u32_e32 v15, vcc, v13, v33, vcc
	v_add_co_u32_e32 v16, vcc, s4, v14
	v_addc_co_u32_e32 v17, vcc, v15, v33, vcc
	global_store_dwordx4 v[12:13], v[0:3], off
	global_store_dwordx4 v[14:15], v[4:7], off
	;; [unrolled: 1-line block ×3, first 2 shown]
.LBB0_39:
	s_endpgm
	.section	.rodata,"a",@progbits
	.p2align	6, 0x0
	.amdhsa_kernel bluestein_single_fwd_len810_dim1_dp_op_CI_CI
		.amdhsa_group_segment_fixed_size 12960
		.amdhsa_private_segment_fixed_size 0
		.amdhsa_kernarg_size 104
		.amdhsa_user_sgpr_count 6
		.amdhsa_user_sgpr_private_segment_buffer 1
		.amdhsa_user_sgpr_dispatch_ptr 0
		.amdhsa_user_sgpr_queue_ptr 0
		.amdhsa_user_sgpr_kernarg_segment_ptr 1
		.amdhsa_user_sgpr_dispatch_id 0
		.amdhsa_user_sgpr_flat_scratch_init 0
		.amdhsa_user_sgpr_private_segment_size 0
		.amdhsa_uses_dynamic_stack 0
		.amdhsa_system_sgpr_private_segment_wavefront_offset 0
		.amdhsa_system_sgpr_workgroup_id_x 1
		.amdhsa_system_sgpr_workgroup_id_y 0
		.amdhsa_system_sgpr_workgroup_id_z 0
		.amdhsa_system_sgpr_workgroup_info 0
		.amdhsa_system_vgpr_workitem_id 0
		.amdhsa_next_free_vgpr 249
		.amdhsa_next_free_sgpr 24
		.amdhsa_reserve_vcc 1
		.amdhsa_reserve_flat_scratch 0
		.amdhsa_float_round_mode_32 0
		.amdhsa_float_round_mode_16_64 0
		.amdhsa_float_denorm_mode_32 3
		.amdhsa_float_denorm_mode_16_64 3
		.amdhsa_dx10_clamp 1
		.amdhsa_ieee_mode 1
		.amdhsa_fp16_overflow 0
		.amdhsa_exception_fp_ieee_invalid_op 0
		.amdhsa_exception_fp_denorm_src 0
		.amdhsa_exception_fp_ieee_div_zero 0
		.amdhsa_exception_fp_ieee_overflow 0
		.amdhsa_exception_fp_ieee_underflow 0
		.amdhsa_exception_fp_ieee_inexact 0
		.amdhsa_exception_int_div_zero 0
	.end_amdhsa_kernel
	.text
.Lfunc_end0:
	.size	bluestein_single_fwd_len810_dim1_dp_op_CI_CI, .Lfunc_end0-bluestein_single_fwd_len810_dim1_dp_op_CI_CI
                                        ; -- End function
	.section	.AMDGPU.csdata,"",@progbits
; Kernel info:
; codeLenInByte = 15148
; NumSgprs: 28
; NumVgprs: 249
; ScratchSize: 0
; MemoryBound: 0
; FloatMode: 240
; IeeeMode: 1
; LDSByteSize: 12960 bytes/workgroup (compile time only)
; SGPRBlocks: 3
; VGPRBlocks: 62
; NumSGPRsForWavesPerEU: 28
; NumVGPRsForWavesPerEU: 249
; Occupancy: 1
; WaveLimiterHint : 1
; COMPUTE_PGM_RSRC2:SCRATCH_EN: 0
; COMPUTE_PGM_RSRC2:USER_SGPR: 6
; COMPUTE_PGM_RSRC2:TRAP_HANDLER: 0
; COMPUTE_PGM_RSRC2:TGID_X_EN: 1
; COMPUTE_PGM_RSRC2:TGID_Y_EN: 0
; COMPUTE_PGM_RSRC2:TGID_Z_EN: 0
; COMPUTE_PGM_RSRC2:TIDIG_COMP_CNT: 0
	.type	__hip_cuid_396fe950df937a56,@object ; @__hip_cuid_396fe950df937a56
	.section	.bss,"aw",@nobits
	.globl	__hip_cuid_396fe950df937a56
__hip_cuid_396fe950df937a56:
	.byte	0                               ; 0x0
	.size	__hip_cuid_396fe950df937a56, 1

	.ident	"AMD clang version 19.0.0git (https://github.com/RadeonOpenCompute/llvm-project roc-6.4.0 25133 c7fe45cf4b819c5991fe208aaa96edf142730f1d)"
	.section	".note.GNU-stack","",@progbits
	.addrsig
	.addrsig_sym __hip_cuid_396fe950df937a56
	.amdgpu_metadata
---
amdhsa.kernels:
  - .args:
      - .actual_access:  read_only
        .address_space:  global
        .offset:         0
        .size:           8
        .value_kind:     global_buffer
      - .actual_access:  read_only
        .address_space:  global
        .offset:         8
        .size:           8
        .value_kind:     global_buffer
      - .actual_access:  read_only
        .address_space:  global
        .offset:         16
        .size:           8
        .value_kind:     global_buffer
      - .actual_access:  read_only
        .address_space:  global
        .offset:         24
        .size:           8
        .value_kind:     global_buffer
      - .actual_access:  read_only
        .address_space:  global
        .offset:         32
        .size:           8
        .value_kind:     global_buffer
      - .offset:         40
        .size:           8
        .value_kind:     by_value
      - .address_space:  global
        .offset:         48
        .size:           8
        .value_kind:     global_buffer
      - .address_space:  global
        .offset:         56
        .size:           8
        .value_kind:     global_buffer
      - .address_space:  global
        .offset:         64
        .size:           8
        .value_kind:     global_buffer
      - .address_space:  global
        .offset:         72
        .size:           8
        .value_kind:     global_buffer
      - .offset:         80
        .size:           4
        .value_kind:     by_value
      - .address_space:  global
        .offset:         88
        .size:           8
        .value_kind:     global_buffer
      - .address_space:  global
        .offset:         96
        .size:           8
        .value_kind:     global_buffer
    .group_segment_fixed_size: 12960
    .kernarg_segment_align: 8
    .kernarg_segment_size: 104
    .language:       OpenCL C
    .language_version:
      - 2
      - 0
    .max_flat_workgroup_size: 81
    .name:           bluestein_single_fwd_len810_dim1_dp_op_CI_CI
    .private_segment_fixed_size: 0
    .sgpr_count:     28
    .sgpr_spill_count: 0
    .symbol:         bluestein_single_fwd_len810_dim1_dp_op_CI_CI.kd
    .uniform_work_group_size: 1
    .uses_dynamic_stack: false
    .vgpr_count:     249
    .vgpr_spill_count: 0
    .wavefront_size: 64
amdhsa.target:   amdgcn-amd-amdhsa--gfx906
amdhsa.version:
  - 1
  - 2
...

	.end_amdgpu_metadata
